;; amdgpu-corpus repo=ROCm/rocBLAS kind=compiled arch=gfx1100 opt=O3
	.text
	.amdgcn_target "amdgcn-amd-amdhsa--gfx1100"
	.amdhsa_code_object_version 6
	.section	.text._ZL19rocblas_swap_kernelIiLi256EPfEviT1_lT_lS1_lS2_li,"axG",@progbits,_ZL19rocblas_swap_kernelIiLi256EPfEviT1_lT_lS1_lS2_li,comdat
	.globl	_ZL19rocblas_swap_kernelIiLi256EPfEviT1_lT_lS1_lS2_li ; -- Begin function _ZL19rocblas_swap_kernelIiLi256EPfEviT1_lT_lS1_lS2_li
	.p2align	8
	.type	_ZL19rocblas_swap_kernelIiLi256EPfEviT1_lT_lS1_lS2_li,@function
_ZL19rocblas_swap_kernelIiLi256EPfEviT1_lT_lS1_lS2_li: ; @_ZL19rocblas_swap_kernelIiLi256EPfEviT1_lT_lS1_lS2_li
; %bb.0:
	s_load_b32 s2, s[0:1], 0x0
	v_lshl_or_b32 v0, s14, 8, v0
	v_mov_b32_e32 v1, 0
	s_waitcnt lgkmcnt(0)
	s_ashr_i32 s3, s2, 31
	s_delay_alu instid0(VALU_DEP_1) | instid1(SALU_CYCLE_1)
	v_cmp_gt_i64_e32 vcc_lo, s[2:3], v[0:1]
	s_and_saveexec_b32 s2, vcc_lo
	s_cbranch_execz .LBB0_2
; %bb.1:
	s_clause 0x5
	s_load_b32 s12, s[0:1], 0x18
	s_load_b32 s13, s[0:1], 0x38
	s_load_b64 s[8:9], s[0:1], 0x40
	s_load_b128 s[4:7], s[0:1], 0x20
	s_load_b64 s[10:11], s[0:1], 0x30
	s_load_b128 s[0:3], s[0:1], 0x8
	s_waitcnt lgkmcnt(0)
	v_mad_u64_u32 v[1:2], null, s12, v0, 0
	v_mad_u64_u32 v[3:4], null, s13, v0, 0
	s_ashr_i32 s14, s12, 31
	s_mul_i32 s9, s15, s9
	s_mul_hi_u32 s17, s15, s8
	s_ashr_i32 s16, s13, 31
	s_mul_i32 s8, s15, s8
	s_add_i32 s9, s17, s9
	s_delay_alu instid0(VALU_DEP_1)
	v_mad_u64_u32 v[5:6], null, s14, v0, v[2:3]
	s_lshl_b64 s[8:9], s[8:9], 2
	s_mul_i32 s5, s15, s5
	s_add_u32 s8, s6, s8
	s_addc_u32 s9, s7, s9
	s_lshl_b64 s[6:7], s[10:11], 2
	s_mul_hi_u32 s12, s15, s4
	s_delay_alu instid0(VALU_DEP_1)
	v_mad_u64_u32 v[6:7], null, s16, v0, v[4:5]
	v_mov_b32_e32 v2, v5
	s_add_u32 s6, s8, s6
	s_mul_i32 s4, s15, s4
	s_addc_u32 s7, s9, s7
	s_add_i32 s5, s12, s5
	v_lshlrev_b64 v[0:1], 2, v[1:2]
	s_delay_alu instid0(VALU_DEP_3) | instskip(SKIP_1) | instid1(SALU_CYCLE_1)
	v_mov_b32_e32 v4, v6
	s_lshl_b64 s[4:5], s[4:5], 2
	s_add_u32 s4, s0, s4
	s_addc_u32 s5, s1, s5
	s_lshl_b64 s[0:1], s[2:3], 2
	v_lshlrev_b64 v[2:3], 2, v[3:4]
	s_add_u32 s0, s4, s0
	s_addc_u32 s1, s5, s1
	v_add_co_u32 v0, vcc_lo, s0, v0
	v_add_co_ci_u32_e32 v1, vcc_lo, s1, v1, vcc_lo
	s_delay_alu instid0(VALU_DEP_3)
	v_add_co_u32 v2, vcc_lo, s6, v2
	v_add_co_ci_u32_e32 v3, vcc_lo, s7, v3, vcc_lo
	global_load_b32 v4, v[0:1], off
	global_load_b32 v5, v[2:3], off
	s_waitcnt vmcnt(1)
	global_store_b32 v[2:3], v4, off
	s_waitcnt vmcnt(0)
	global_store_b32 v[0:1], v5, off
.LBB0_2:
	s_nop 0
	s_sendmsg sendmsg(MSG_DEALLOC_VGPRS)
	s_endpgm
	.section	.rodata,"a",@progbits
	.p2align	6, 0x0
	.amdhsa_kernel _ZL19rocblas_swap_kernelIiLi256EPfEviT1_lT_lS1_lS2_li
		.amdhsa_group_segment_fixed_size 0
		.amdhsa_private_segment_fixed_size 0
		.amdhsa_kernarg_size 76
		.amdhsa_user_sgpr_count 14
		.amdhsa_user_sgpr_dispatch_ptr 0
		.amdhsa_user_sgpr_queue_ptr 0
		.amdhsa_user_sgpr_kernarg_segment_ptr 1
		.amdhsa_user_sgpr_dispatch_id 0
		.amdhsa_user_sgpr_private_segment_size 0
		.amdhsa_wavefront_size32 1
		.amdhsa_uses_dynamic_stack 0
		.amdhsa_enable_private_segment 0
		.amdhsa_system_sgpr_workgroup_id_x 1
		.amdhsa_system_sgpr_workgroup_id_y 0
		.amdhsa_system_sgpr_workgroup_id_z 1
		.amdhsa_system_sgpr_workgroup_info 0
		.amdhsa_system_vgpr_workitem_id 0
		.amdhsa_next_free_vgpr 8
		.amdhsa_next_free_sgpr 18
		.amdhsa_reserve_vcc 1
		.amdhsa_float_round_mode_32 0
		.amdhsa_float_round_mode_16_64 0
		.amdhsa_float_denorm_mode_32 3
		.amdhsa_float_denorm_mode_16_64 3
		.amdhsa_dx10_clamp 1
		.amdhsa_ieee_mode 1
		.amdhsa_fp16_overflow 0
		.amdhsa_workgroup_processor_mode 1
		.amdhsa_memory_ordered 1
		.amdhsa_forward_progress 0
		.amdhsa_shared_vgpr_count 0
		.amdhsa_exception_fp_ieee_invalid_op 0
		.amdhsa_exception_fp_denorm_src 0
		.amdhsa_exception_fp_ieee_div_zero 0
		.amdhsa_exception_fp_ieee_overflow 0
		.amdhsa_exception_fp_ieee_underflow 0
		.amdhsa_exception_fp_ieee_inexact 0
		.amdhsa_exception_int_div_zero 0
	.end_amdhsa_kernel
	.section	.text._ZL19rocblas_swap_kernelIiLi256EPfEviT1_lT_lS1_lS2_li,"axG",@progbits,_ZL19rocblas_swap_kernelIiLi256EPfEviT1_lT_lS1_lS2_li,comdat
.Lfunc_end0:
	.size	_ZL19rocblas_swap_kernelIiLi256EPfEviT1_lT_lS1_lS2_li, .Lfunc_end0-_ZL19rocblas_swap_kernelIiLi256EPfEviT1_lT_lS1_lS2_li
                                        ; -- End function
	.section	.AMDGPU.csdata,"",@progbits
; Kernel info:
; codeLenInByte = 336
; NumSgprs: 20
; NumVgprs: 8
; ScratchSize: 0
; MemoryBound: 0
; FloatMode: 240
; IeeeMode: 1
; LDSByteSize: 0 bytes/workgroup (compile time only)
; SGPRBlocks: 2
; VGPRBlocks: 0
; NumSGPRsForWavesPerEU: 20
; NumVGPRsForWavesPerEU: 8
; Occupancy: 16
; WaveLimiterHint : 0
; COMPUTE_PGM_RSRC2:SCRATCH_EN: 0
; COMPUTE_PGM_RSRC2:USER_SGPR: 14
; COMPUTE_PGM_RSRC2:TRAP_HANDLER: 0
; COMPUTE_PGM_RSRC2:TGID_X_EN: 1
; COMPUTE_PGM_RSRC2:TGID_Y_EN: 0
; COMPUTE_PGM_RSRC2:TGID_Z_EN: 1
; COMPUTE_PGM_RSRC2:TIDIG_COMP_CNT: 0
	.section	.text._ZL22rocblas_sswap_2_kernelILi256EPfEviT0_llS1_lli,"axG",@progbits,_ZL22rocblas_sswap_2_kernelILi256EPfEviT0_llS1_lli,comdat
	.globl	_ZL22rocblas_sswap_2_kernelILi256EPfEviT0_llS1_lli ; -- Begin function _ZL22rocblas_sswap_2_kernelILi256EPfEviT0_llS1_lli
	.p2align	8
	.type	_ZL22rocblas_sswap_2_kernelILi256EPfEviT0_llS1_lli,@function
_ZL22rocblas_sswap_2_kernelILi256EPfEviT0_llS1_lli: ; @_ZL22rocblas_sswap_2_kernelILi256EPfEviT0_llS1_lli
; %bb.0:
	s_clause 0x4
	s_load_b128 s[4:7], s[0:1], 0x10
	s_load_b128 s[8:11], s[0:1], 0x28
	s_load_b64 s[12:13], s[0:1], 0x8
	s_load_b64 s[16:17], s[0:1], 0x20
	s_load_b32 s2, s[0:1], 0x0
	v_dual_mov_b32 v3, 0 :: v_dual_lshlrev_b32 v0, 1, v0
	s_delay_alu instid0(VALU_DEP_1) | instskip(NEXT) | instid1(VALU_DEP_1)
	v_lshl_or_b32 v2, s14, 9, v0
	v_lshlrev_b64 v[0:1], 2, v[2:3]
	s_waitcnt lgkmcnt(0)
	s_mul_i32 s1, s15, s7
	s_mul_hi_u32 s3, s15, s6
	s_mul_i32 s0, s15, s6
	s_add_i32 s1, s3, s1
	s_mul_i32 s7, s15, s11
	s_lshl_b64 s[0:1], s[0:1], 2
	s_mul_hi_u32 s11, s15, s10
	s_add_u32 s3, s12, s0
	s_addc_u32 s12, s13, s1
	s_lshl_b64 s[0:1], s[4:5], 2
	s_mul_i32 s6, s15, s10
	s_add_u32 s3, s3, s0
	s_addc_u32 s4, s12, s1
	s_add_i32 s7, s11, s7
	s_delay_alu instid0(SALU_CYCLE_1) | instskip(SKIP_4) | instid1(SALU_CYCLE_1)
	s_lshl_b64 s[0:1], s[6:7], 2
	s_mov_b32 s7, exec_lo
	s_add_u32 s5, s16, s0
	s_addc_u32 s6, s17, s1
	s_lshl_b64 s[0:1], s[8:9], 2
	s_add_u32 s5, s5, s0
	s_addc_u32 s6, s6, s1
	s_add_i32 s0, s2, -1
	s_delay_alu instid0(SALU_CYCLE_1) | instskip(NEXT) | instid1(SALU_CYCLE_1)
	s_ashr_i32 s1, s0, 31
	v_cmpx_gt_i64_e64 s[0:1], v[2:3]
	s_cbranch_execz .LBB1_2
; %bb.1:
	v_add_co_u32 v4, vcc_lo, s3, v0
	v_add_co_ci_u32_e32 v5, vcc_lo, s4, v1, vcc_lo
	v_add_co_u32 v6, vcc_lo, s5, v0
	v_add_co_ci_u32_e32 v7, vcc_lo, s6, v1, vcc_lo
	global_load_b64 v[8:9], v[4:5], off
	global_load_b64 v[10:11], v[6:7], off
	s_waitcnt vmcnt(1)
	global_store_b64 v[6:7], v[8:9], off
	s_waitcnt vmcnt(0)
	global_store_b64 v[4:5], v[10:11], off
.LBB1_2:
	s_or_b32 exec_lo, exec_lo, s7
	v_cmp_eq_u64_e32 vcc_lo, s[0:1], v[2:3]
	s_bitcmp1_b32 s2, 0
	s_cselect_b32 s0, -1, 0
	s_delay_alu instid0(SALU_CYCLE_1) | instskip(NEXT) | instid1(SALU_CYCLE_1)
	s_and_b32 s0, s0, vcc_lo
	s_and_saveexec_b32 s1, s0
	s_cbranch_execz .LBB1_4
; %bb.3:
	v_add_co_u32 v2, vcc_lo, s3, v0
	v_add_co_ci_u32_e32 v3, vcc_lo, s4, v1, vcc_lo
	v_add_co_u32 v0, vcc_lo, s5, v0
	v_add_co_ci_u32_e32 v1, vcc_lo, s6, v1, vcc_lo
	global_load_b32 v4, v[2:3], off
	global_load_b32 v5, v[0:1], off
	s_waitcnt vmcnt(1)
	global_store_b32 v[0:1], v4, off
	s_waitcnt vmcnt(0)
	global_store_b32 v[2:3], v5, off
.LBB1_4:
	s_nop 0
	s_sendmsg sendmsg(MSG_DEALLOC_VGPRS)
	s_endpgm
	.section	.rodata,"a",@progbits
	.p2align	6, 0x0
	.amdhsa_kernel _ZL22rocblas_sswap_2_kernelILi256EPfEviT0_llS1_lli
		.amdhsa_group_segment_fixed_size 0
		.amdhsa_private_segment_fixed_size 0
		.amdhsa_kernarg_size 60
		.amdhsa_user_sgpr_count 14
		.amdhsa_user_sgpr_dispatch_ptr 0
		.amdhsa_user_sgpr_queue_ptr 0
		.amdhsa_user_sgpr_kernarg_segment_ptr 1
		.amdhsa_user_sgpr_dispatch_id 0
		.amdhsa_user_sgpr_private_segment_size 0
		.amdhsa_wavefront_size32 1
		.amdhsa_uses_dynamic_stack 0
		.amdhsa_enable_private_segment 0
		.amdhsa_system_sgpr_workgroup_id_x 1
		.amdhsa_system_sgpr_workgroup_id_y 0
		.amdhsa_system_sgpr_workgroup_id_z 1
		.amdhsa_system_sgpr_workgroup_info 0
		.amdhsa_system_vgpr_workitem_id 0
		.amdhsa_next_free_vgpr 12
		.amdhsa_next_free_sgpr 18
		.amdhsa_reserve_vcc 1
		.amdhsa_float_round_mode_32 0
		.amdhsa_float_round_mode_16_64 0
		.amdhsa_float_denorm_mode_32 3
		.amdhsa_float_denorm_mode_16_64 3
		.amdhsa_dx10_clamp 1
		.amdhsa_ieee_mode 1
		.amdhsa_fp16_overflow 0
		.amdhsa_workgroup_processor_mode 1
		.amdhsa_memory_ordered 1
		.amdhsa_forward_progress 0
		.amdhsa_shared_vgpr_count 0
		.amdhsa_exception_fp_ieee_invalid_op 0
		.amdhsa_exception_fp_denorm_src 0
		.amdhsa_exception_fp_ieee_div_zero 0
		.amdhsa_exception_fp_ieee_overflow 0
		.amdhsa_exception_fp_ieee_underflow 0
		.amdhsa_exception_fp_ieee_inexact 0
		.amdhsa_exception_int_div_zero 0
	.end_amdhsa_kernel
	.section	.text._ZL22rocblas_sswap_2_kernelILi256EPfEviT0_llS1_lli,"axG",@progbits,_ZL22rocblas_sswap_2_kernelILi256EPfEviT0_llS1_lli,comdat
.Lfunc_end1:
	.size	_ZL22rocblas_sswap_2_kernelILi256EPfEviT0_llS1_lli, .Lfunc_end1-_ZL22rocblas_sswap_2_kernelILi256EPfEviT0_llS1_lli
                                        ; -- End function
	.section	.AMDGPU.csdata,"",@progbits
; Kernel info:
; codeLenInByte = 360
; NumSgprs: 20
; NumVgprs: 12
; ScratchSize: 0
; MemoryBound: 0
; FloatMode: 240
; IeeeMode: 1
; LDSByteSize: 0 bytes/workgroup (compile time only)
; SGPRBlocks: 2
; VGPRBlocks: 1
; NumSGPRsForWavesPerEU: 20
; NumVGPRsForWavesPerEU: 12
; Occupancy: 16
; WaveLimiterHint : 0
; COMPUTE_PGM_RSRC2:SCRATCH_EN: 0
; COMPUTE_PGM_RSRC2:USER_SGPR: 14
; COMPUTE_PGM_RSRC2:TRAP_HANDLER: 0
; COMPUTE_PGM_RSRC2:TGID_X_EN: 1
; COMPUTE_PGM_RSRC2:TGID_Y_EN: 0
; COMPUTE_PGM_RSRC2:TGID_Z_EN: 1
; COMPUTE_PGM_RSRC2:TIDIG_COMP_CNT: 0
	.section	.text._ZL19rocblas_swap_kernelIiLi256EPdEviT1_lT_lS1_lS2_li,"axG",@progbits,_ZL19rocblas_swap_kernelIiLi256EPdEviT1_lT_lS1_lS2_li,comdat
	.globl	_ZL19rocblas_swap_kernelIiLi256EPdEviT1_lT_lS1_lS2_li ; -- Begin function _ZL19rocblas_swap_kernelIiLi256EPdEviT1_lT_lS1_lS2_li
	.p2align	8
	.type	_ZL19rocblas_swap_kernelIiLi256EPdEviT1_lT_lS1_lS2_li,@function
_ZL19rocblas_swap_kernelIiLi256EPdEviT1_lT_lS1_lS2_li: ; @_ZL19rocblas_swap_kernelIiLi256EPdEviT1_lT_lS1_lS2_li
; %bb.0:
	s_load_b32 s2, s[0:1], 0x0
	v_lshl_or_b32 v0, s14, 8, v0
	v_mov_b32_e32 v1, 0
	s_waitcnt lgkmcnt(0)
	s_ashr_i32 s3, s2, 31
	s_delay_alu instid0(VALU_DEP_1) | instid1(SALU_CYCLE_1)
	v_cmp_gt_i64_e32 vcc_lo, s[2:3], v[0:1]
	s_and_saveexec_b32 s2, vcc_lo
	s_cbranch_execz .LBB2_2
; %bb.1:
	s_clause 0x5
	s_load_b32 s12, s[0:1], 0x18
	s_load_b32 s13, s[0:1], 0x38
	s_load_b64 s[8:9], s[0:1], 0x40
	s_load_b128 s[4:7], s[0:1], 0x20
	s_load_b64 s[10:11], s[0:1], 0x30
	s_load_b128 s[0:3], s[0:1], 0x8
	s_waitcnt lgkmcnt(0)
	v_mad_u64_u32 v[1:2], null, s12, v0, 0
	v_mad_u64_u32 v[3:4], null, s13, v0, 0
	s_ashr_i32 s14, s12, 31
	s_mul_i32 s9, s15, s9
	s_mul_hi_u32 s17, s15, s8
	s_ashr_i32 s16, s13, 31
	s_mul_i32 s8, s15, s8
	s_add_i32 s9, s17, s9
	s_delay_alu instid0(VALU_DEP_1)
	v_mad_u64_u32 v[5:6], null, s14, v0, v[2:3]
	s_lshl_b64 s[8:9], s[8:9], 3
	s_mul_i32 s5, s15, s5
	s_add_u32 s8, s6, s8
	s_addc_u32 s9, s7, s9
	s_lshl_b64 s[6:7], s[10:11], 3
	s_mul_hi_u32 s12, s15, s4
	s_delay_alu instid0(VALU_DEP_1)
	v_mad_u64_u32 v[6:7], null, s16, v0, v[4:5]
	v_mov_b32_e32 v2, v5
	s_add_u32 s6, s8, s6
	s_mul_i32 s4, s15, s4
	s_addc_u32 s7, s9, s7
	s_add_i32 s5, s12, s5
	v_lshlrev_b64 v[0:1], 3, v[1:2]
	s_delay_alu instid0(VALU_DEP_3) | instskip(SKIP_1) | instid1(SALU_CYCLE_1)
	v_mov_b32_e32 v4, v6
	s_lshl_b64 s[4:5], s[4:5], 3
	s_add_u32 s4, s0, s4
	s_addc_u32 s5, s1, s5
	s_lshl_b64 s[0:1], s[2:3], 3
	v_lshlrev_b64 v[2:3], 3, v[3:4]
	s_add_u32 s0, s4, s0
	s_addc_u32 s1, s5, s1
	v_add_co_u32 v0, vcc_lo, s0, v0
	v_add_co_ci_u32_e32 v1, vcc_lo, s1, v1, vcc_lo
	s_delay_alu instid0(VALU_DEP_3)
	v_add_co_u32 v2, vcc_lo, s6, v2
	v_add_co_ci_u32_e32 v3, vcc_lo, s7, v3, vcc_lo
	global_load_b64 v[4:5], v[0:1], off
	global_load_b64 v[6:7], v[2:3], off
	s_waitcnt vmcnt(1)
	global_store_b64 v[2:3], v[4:5], off
	s_waitcnt vmcnt(0)
	global_store_b64 v[0:1], v[6:7], off
.LBB2_2:
	s_nop 0
	s_sendmsg sendmsg(MSG_DEALLOC_VGPRS)
	s_endpgm
	.section	.rodata,"a",@progbits
	.p2align	6, 0x0
	.amdhsa_kernel _ZL19rocblas_swap_kernelIiLi256EPdEviT1_lT_lS1_lS2_li
		.amdhsa_group_segment_fixed_size 0
		.amdhsa_private_segment_fixed_size 0
		.amdhsa_kernarg_size 76
		.amdhsa_user_sgpr_count 14
		.amdhsa_user_sgpr_dispatch_ptr 0
		.amdhsa_user_sgpr_queue_ptr 0
		.amdhsa_user_sgpr_kernarg_segment_ptr 1
		.amdhsa_user_sgpr_dispatch_id 0
		.amdhsa_user_sgpr_private_segment_size 0
		.amdhsa_wavefront_size32 1
		.amdhsa_uses_dynamic_stack 0
		.amdhsa_enable_private_segment 0
		.amdhsa_system_sgpr_workgroup_id_x 1
		.amdhsa_system_sgpr_workgroup_id_y 0
		.amdhsa_system_sgpr_workgroup_id_z 1
		.amdhsa_system_sgpr_workgroup_info 0
		.amdhsa_system_vgpr_workitem_id 0
		.amdhsa_next_free_vgpr 8
		.amdhsa_next_free_sgpr 18
		.amdhsa_reserve_vcc 1
		.amdhsa_float_round_mode_32 0
		.amdhsa_float_round_mode_16_64 0
		.amdhsa_float_denorm_mode_32 3
		.amdhsa_float_denorm_mode_16_64 3
		.amdhsa_dx10_clamp 1
		.amdhsa_ieee_mode 1
		.amdhsa_fp16_overflow 0
		.amdhsa_workgroup_processor_mode 1
		.amdhsa_memory_ordered 1
		.amdhsa_forward_progress 0
		.amdhsa_shared_vgpr_count 0
		.amdhsa_exception_fp_ieee_invalid_op 0
		.amdhsa_exception_fp_denorm_src 0
		.amdhsa_exception_fp_ieee_div_zero 0
		.amdhsa_exception_fp_ieee_overflow 0
		.amdhsa_exception_fp_ieee_underflow 0
		.amdhsa_exception_fp_ieee_inexact 0
		.amdhsa_exception_int_div_zero 0
	.end_amdhsa_kernel
	.section	.text._ZL19rocblas_swap_kernelIiLi256EPdEviT1_lT_lS1_lS2_li,"axG",@progbits,_ZL19rocblas_swap_kernelIiLi256EPdEviT1_lT_lS1_lS2_li,comdat
.Lfunc_end2:
	.size	_ZL19rocblas_swap_kernelIiLi256EPdEviT1_lT_lS1_lS2_li, .Lfunc_end2-_ZL19rocblas_swap_kernelIiLi256EPdEviT1_lT_lS1_lS2_li
                                        ; -- End function
	.section	.AMDGPU.csdata,"",@progbits
; Kernel info:
; codeLenInByte = 336
; NumSgprs: 20
; NumVgprs: 8
; ScratchSize: 0
; MemoryBound: 0
; FloatMode: 240
; IeeeMode: 1
; LDSByteSize: 0 bytes/workgroup (compile time only)
; SGPRBlocks: 2
; VGPRBlocks: 0
; NumSGPRsForWavesPerEU: 20
; NumVGPRsForWavesPerEU: 8
; Occupancy: 16
; WaveLimiterHint : 0
; COMPUTE_PGM_RSRC2:SCRATCH_EN: 0
; COMPUTE_PGM_RSRC2:USER_SGPR: 14
; COMPUTE_PGM_RSRC2:TRAP_HANDLER: 0
; COMPUTE_PGM_RSRC2:TGID_X_EN: 1
; COMPUTE_PGM_RSRC2:TGID_Y_EN: 0
; COMPUTE_PGM_RSRC2:TGID_Z_EN: 1
; COMPUTE_PGM_RSRC2:TIDIG_COMP_CNT: 0
	.section	.text._ZL22rocblas_sswap_2_kernelILi256EPdEviT0_llS1_lli,"axG",@progbits,_ZL22rocblas_sswap_2_kernelILi256EPdEviT0_llS1_lli,comdat
	.globl	_ZL22rocblas_sswap_2_kernelILi256EPdEviT0_llS1_lli ; -- Begin function _ZL22rocblas_sswap_2_kernelILi256EPdEviT0_llS1_lli
	.p2align	8
	.type	_ZL22rocblas_sswap_2_kernelILi256EPdEviT0_llS1_lli,@function
_ZL22rocblas_sswap_2_kernelILi256EPdEviT0_llS1_lli: ; @_ZL22rocblas_sswap_2_kernelILi256EPdEviT0_llS1_lli
; %bb.0:
	s_clause 0x4
	s_load_b128 s[4:7], s[0:1], 0x10
	s_load_b128 s[8:11], s[0:1], 0x28
	s_load_b64 s[12:13], s[0:1], 0x8
	s_load_b64 s[16:17], s[0:1], 0x20
	s_load_b32 s2, s[0:1], 0x0
	v_dual_mov_b32 v3, 0 :: v_dual_lshlrev_b32 v0, 1, v0
	s_delay_alu instid0(VALU_DEP_1) | instskip(NEXT) | instid1(VALU_DEP_1)
	v_lshl_or_b32 v2, s14, 9, v0
	v_lshlrev_b64 v[0:1], 3, v[2:3]
	s_waitcnt lgkmcnt(0)
	s_mul_i32 s1, s15, s7
	s_mul_hi_u32 s3, s15, s6
	s_mul_i32 s0, s15, s6
	s_add_i32 s1, s3, s1
	s_mul_i32 s7, s15, s11
	s_lshl_b64 s[0:1], s[0:1], 3
	s_mul_hi_u32 s11, s15, s10
	s_add_u32 s3, s12, s0
	s_addc_u32 s12, s13, s1
	s_lshl_b64 s[0:1], s[4:5], 3
	s_mul_i32 s6, s15, s10
	s_add_u32 s3, s3, s0
	s_addc_u32 s4, s12, s1
	s_add_i32 s7, s11, s7
	s_delay_alu instid0(SALU_CYCLE_1) | instskip(SKIP_4) | instid1(SALU_CYCLE_1)
	s_lshl_b64 s[0:1], s[6:7], 3
	s_mov_b32 s7, exec_lo
	s_add_u32 s5, s16, s0
	s_addc_u32 s6, s17, s1
	s_lshl_b64 s[0:1], s[8:9], 3
	s_add_u32 s5, s5, s0
	s_addc_u32 s6, s6, s1
	s_add_i32 s0, s2, -1
	s_delay_alu instid0(SALU_CYCLE_1) | instskip(NEXT) | instid1(SALU_CYCLE_1)
	s_ashr_i32 s1, s0, 31
	v_cmpx_gt_i64_e64 s[0:1], v[2:3]
	s_cbranch_execz .LBB3_2
; %bb.1:
	v_add_co_u32 v12, vcc_lo, s3, v0
	v_add_co_ci_u32_e32 v13, vcc_lo, s4, v1, vcc_lo
	v_add_co_u32 v14, vcc_lo, s5, v0
	v_add_co_ci_u32_e32 v15, vcc_lo, s6, v1, vcc_lo
	global_load_b128 v[4:7], v[12:13], off
	global_load_b128 v[8:11], v[14:15], off
	s_waitcnt vmcnt(1)
	global_store_b128 v[14:15], v[4:7], off
	s_waitcnt vmcnt(0)
	global_store_b128 v[12:13], v[8:11], off
.LBB3_2:
	s_or_b32 exec_lo, exec_lo, s7
	v_cmp_eq_u64_e32 vcc_lo, s[0:1], v[2:3]
	s_bitcmp1_b32 s2, 0
	s_cselect_b32 s0, -1, 0
	s_delay_alu instid0(SALU_CYCLE_1) | instskip(NEXT) | instid1(SALU_CYCLE_1)
	s_and_b32 s0, s0, vcc_lo
	s_and_saveexec_b32 s1, s0
	s_cbranch_execz .LBB3_4
; %bb.3:
	v_add_co_u32 v2, vcc_lo, s3, v0
	v_add_co_ci_u32_e32 v3, vcc_lo, s4, v1, vcc_lo
	v_add_co_u32 v0, vcc_lo, s5, v0
	v_add_co_ci_u32_e32 v1, vcc_lo, s6, v1, vcc_lo
	global_load_b64 v[4:5], v[2:3], off
	global_load_b64 v[6:7], v[0:1], off
	s_waitcnt vmcnt(1)
	global_store_b64 v[0:1], v[4:5], off
	s_waitcnt vmcnt(0)
	global_store_b64 v[2:3], v[6:7], off
.LBB3_4:
	s_nop 0
	s_sendmsg sendmsg(MSG_DEALLOC_VGPRS)
	s_endpgm
	.section	.rodata,"a",@progbits
	.p2align	6, 0x0
	.amdhsa_kernel _ZL22rocblas_sswap_2_kernelILi256EPdEviT0_llS1_lli
		.amdhsa_group_segment_fixed_size 0
		.amdhsa_private_segment_fixed_size 0
		.amdhsa_kernarg_size 60
		.amdhsa_user_sgpr_count 14
		.amdhsa_user_sgpr_dispatch_ptr 0
		.amdhsa_user_sgpr_queue_ptr 0
		.amdhsa_user_sgpr_kernarg_segment_ptr 1
		.amdhsa_user_sgpr_dispatch_id 0
		.amdhsa_user_sgpr_private_segment_size 0
		.amdhsa_wavefront_size32 1
		.amdhsa_uses_dynamic_stack 0
		.amdhsa_enable_private_segment 0
		.amdhsa_system_sgpr_workgroup_id_x 1
		.amdhsa_system_sgpr_workgroup_id_y 0
		.amdhsa_system_sgpr_workgroup_id_z 1
		.amdhsa_system_sgpr_workgroup_info 0
		.amdhsa_system_vgpr_workitem_id 0
		.amdhsa_next_free_vgpr 16
		.amdhsa_next_free_sgpr 18
		.amdhsa_reserve_vcc 1
		.amdhsa_float_round_mode_32 0
		.amdhsa_float_round_mode_16_64 0
		.amdhsa_float_denorm_mode_32 3
		.amdhsa_float_denorm_mode_16_64 3
		.amdhsa_dx10_clamp 1
		.amdhsa_ieee_mode 1
		.amdhsa_fp16_overflow 0
		.amdhsa_workgroup_processor_mode 1
		.amdhsa_memory_ordered 1
		.amdhsa_forward_progress 0
		.amdhsa_shared_vgpr_count 0
		.amdhsa_exception_fp_ieee_invalid_op 0
		.amdhsa_exception_fp_denorm_src 0
		.amdhsa_exception_fp_ieee_div_zero 0
		.amdhsa_exception_fp_ieee_overflow 0
		.amdhsa_exception_fp_ieee_underflow 0
		.amdhsa_exception_fp_ieee_inexact 0
		.amdhsa_exception_int_div_zero 0
	.end_amdhsa_kernel
	.section	.text._ZL22rocblas_sswap_2_kernelILi256EPdEviT0_llS1_lli,"axG",@progbits,_ZL22rocblas_sswap_2_kernelILi256EPdEviT0_llS1_lli,comdat
.Lfunc_end3:
	.size	_ZL22rocblas_sswap_2_kernelILi256EPdEviT0_llS1_lli, .Lfunc_end3-_ZL22rocblas_sswap_2_kernelILi256EPdEviT0_llS1_lli
                                        ; -- End function
	.section	.AMDGPU.csdata,"",@progbits
; Kernel info:
; codeLenInByte = 360
; NumSgprs: 20
; NumVgprs: 16
; ScratchSize: 0
; MemoryBound: 0
; FloatMode: 240
; IeeeMode: 1
; LDSByteSize: 0 bytes/workgroup (compile time only)
; SGPRBlocks: 2
; VGPRBlocks: 1
; NumSGPRsForWavesPerEU: 20
; NumVGPRsForWavesPerEU: 16
; Occupancy: 16
; WaveLimiterHint : 0
; COMPUTE_PGM_RSRC2:SCRATCH_EN: 0
; COMPUTE_PGM_RSRC2:USER_SGPR: 14
; COMPUTE_PGM_RSRC2:TRAP_HANDLER: 0
; COMPUTE_PGM_RSRC2:TGID_X_EN: 1
; COMPUTE_PGM_RSRC2:TGID_Y_EN: 0
; COMPUTE_PGM_RSRC2:TGID_Z_EN: 1
; COMPUTE_PGM_RSRC2:TIDIG_COMP_CNT: 0
	.section	.text._ZL19rocblas_swap_kernelIiLi256EP19rocblas_complex_numIfEEviT1_lT_lS3_lS4_li,"axG",@progbits,_ZL19rocblas_swap_kernelIiLi256EP19rocblas_complex_numIfEEviT1_lT_lS3_lS4_li,comdat
	.globl	_ZL19rocblas_swap_kernelIiLi256EP19rocblas_complex_numIfEEviT1_lT_lS3_lS4_li ; -- Begin function _ZL19rocblas_swap_kernelIiLi256EP19rocblas_complex_numIfEEviT1_lT_lS3_lS4_li
	.p2align	8
	.type	_ZL19rocblas_swap_kernelIiLi256EP19rocblas_complex_numIfEEviT1_lT_lS3_lS4_li,@function
_ZL19rocblas_swap_kernelIiLi256EP19rocblas_complex_numIfEEviT1_lT_lS3_lS4_li: ; @_ZL19rocblas_swap_kernelIiLi256EP19rocblas_complex_numIfEEviT1_lT_lS3_lS4_li
; %bb.0:
	s_load_b32 s2, s[0:1], 0x0
	v_lshl_or_b32 v0, s14, 8, v0
	v_mov_b32_e32 v1, 0
	s_waitcnt lgkmcnt(0)
	s_ashr_i32 s3, s2, 31
	s_delay_alu instid0(VALU_DEP_1) | instid1(SALU_CYCLE_1)
	v_cmp_gt_i64_e32 vcc_lo, s[2:3], v[0:1]
	s_and_saveexec_b32 s2, vcc_lo
	s_cbranch_execz .LBB4_2
; %bb.1:
	s_clause 0x5
	s_load_b32 s12, s[0:1], 0x18
	s_load_b32 s13, s[0:1], 0x38
	s_load_b64 s[8:9], s[0:1], 0x40
	s_load_b128 s[4:7], s[0:1], 0x20
	s_load_b64 s[10:11], s[0:1], 0x30
	s_load_b128 s[0:3], s[0:1], 0x8
	s_waitcnt lgkmcnt(0)
	v_mad_u64_u32 v[1:2], null, s12, v0, 0
	v_mad_u64_u32 v[3:4], null, s13, v0, 0
	s_ashr_i32 s14, s12, 31
	s_mul_i32 s9, s15, s9
	s_mul_hi_u32 s17, s15, s8
	s_ashr_i32 s16, s13, 31
	s_mul_i32 s8, s15, s8
	s_add_i32 s9, s17, s9
	s_delay_alu instid0(VALU_DEP_1)
	v_mad_u64_u32 v[5:6], null, s14, v0, v[2:3]
	s_lshl_b64 s[8:9], s[8:9], 3
	s_mul_i32 s5, s15, s5
	s_add_u32 s8, s6, s8
	s_addc_u32 s9, s7, s9
	s_lshl_b64 s[6:7], s[10:11], 3
	s_mul_hi_u32 s12, s15, s4
	s_delay_alu instid0(VALU_DEP_1)
	v_mad_u64_u32 v[6:7], null, s16, v0, v[4:5]
	v_mov_b32_e32 v2, v5
	s_add_u32 s6, s8, s6
	s_mul_i32 s4, s15, s4
	s_addc_u32 s7, s9, s7
	s_add_i32 s5, s12, s5
	v_lshlrev_b64 v[0:1], 3, v[1:2]
	s_delay_alu instid0(VALU_DEP_3) | instskip(SKIP_1) | instid1(SALU_CYCLE_1)
	v_mov_b32_e32 v4, v6
	s_lshl_b64 s[4:5], s[4:5], 3
	s_add_u32 s4, s0, s4
	s_addc_u32 s5, s1, s5
	s_lshl_b64 s[0:1], s[2:3], 3
	v_lshlrev_b64 v[2:3], 3, v[3:4]
	s_add_u32 s0, s4, s0
	s_addc_u32 s1, s5, s1
	v_add_co_u32 v0, vcc_lo, s0, v0
	v_add_co_ci_u32_e32 v1, vcc_lo, s1, v1, vcc_lo
	s_delay_alu instid0(VALU_DEP_3)
	v_add_co_u32 v2, vcc_lo, s6, v2
	v_add_co_ci_u32_e32 v3, vcc_lo, s7, v3, vcc_lo
	global_load_b64 v[4:5], v[0:1], off
	global_load_b64 v[6:7], v[2:3], off
	s_waitcnt vmcnt(1)
	global_store_b64 v[2:3], v[4:5], off
	s_waitcnt vmcnt(0)
	global_store_b64 v[0:1], v[6:7], off
.LBB4_2:
	s_nop 0
	s_sendmsg sendmsg(MSG_DEALLOC_VGPRS)
	s_endpgm
	.section	.rodata,"a",@progbits
	.p2align	6, 0x0
	.amdhsa_kernel _ZL19rocblas_swap_kernelIiLi256EP19rocblas_complex_numIfEEviT1_lT_lS3_lS4_li
		.amdhsa_group_segment_fixed_size 0
		.amdhsa_private_segment_fixed_size 0
		.amdhsa_kernarg_size 76
		.amdhsa_user_sgpr_count 14
		.amdhsa_user_sgpr_dispatch_ptr 0
		.amdhsa_user_sgpr_queue_ptr 0
		.amdhsa_user_sgpr_kernarg_segment_ptr 1
		.amdhsa_user_sgpr_dispatch_id 0
		.amdhsa_user_sgpr_private_segment_size 0
		.amdhsa_wavefront_size32 1
		.amdhsa_uses_dynamic_stack 0
		.amdhsa_enable_private_segment 0
		.amdhsa_system_sgpr_workgroup_id_x 1
		.amdhsa_system_sgpr_workgroup_id_y 0
		.amdhsa_system_sgpr_workgroup_id_z 1
		.amdhsa_system_sgpr_workgroup_info 0
		.amdhsa_system_vgpr_workitem_id 0
		.amdhsa_next_free_vgpr 8
		.amdhsa_next_free_sgpr 18
		.amdhsa_reserve_vcc 1
		.amdhsa_float_round_mode_32 0
		.amdhsa_float_round_mode_16_64 0
		.amdhsa_float_denorm_mode_32 3
		.amdhsa_float_denorm_mode_16_64 3
		.amdhsa_dx10_clamp 1
		.amdhsa_ieee_mode 1
		.amdhsa_fp16_overflow 0
		.amdhsa_workgroup_processor_mode 1
		.amdhsa_memory_ordered 1
		.amdhsa_forward_progress 0
		.amdhsa_shared_vgpr_count 0
		.amdhsa_exception_fp_ieee_invalid_op 0
		.amdhsa_exception_fp_denorm_src 0
		.amdhsa_exception_fp_ieee_div_zero 0
		.amdhsa_exception_fp_ieee_overflow 0
		.amdhsa_exception_fp_ieee_underflow 0
		.amdhsa_exception_fp_ieee_inexact 0
		.amdhsa_exception_int_div_zero 0
	.end_amdhsa_kernel
	.section	.text._ZL19rocblas_swap_kernelIiLi256EP19rocblas_complex_numIfEEviT1_lT_lS3_lS4_li,"axG",@progbits,_ZL19rocblas_swap_kernelIiLi256EP19rocblas_complex_numIfEEviT1_lT_lS3_lS4_li,comdat
.Lfunc_end4:
	.size	_ZL19rocblas_swap_kernelIiLi256EP19rocblas_complex_numIfEEviT1_lT_lS3_lS4_li, .Lfunc_end4-_ZL19rocblas_swap_kernelIiLi256EP19rocblas_complex_numIfEEviT1_lT_lS3_lS4_li
                                        ; -- End function
	.section	.AMDGPU.csdata,"",@progbits
; Kernel info:
; codeLenInByte = 336
; NumSgprs: 20
; NumVgprs: 8
; ScratchSize: 0
; MemoryBound: 0
; FloatMode: 240
; IeeeMode: 1
; LDSByteSize: 0 bytes/workgroup (compile time only)
; SGPRBlocks: 2
; VGPRBlocks: 0
; NumSGPRsForWavesPerEU: 20
; NumVGPRsForWavesPerEU: 8
; Occupancy: 16
; WaveLimiterHint : 0
; COMPUTE_PGM_RSRC2:SCRATCH_EN: 0
; COMPUTE_PGM_RSRC2:USER_SGPR: 14
; COMPUTE_PGM_RSRC2:TRAP_HANDLER: 0
; COMPUTE_PGM_RSRC2:TGID_X_EN: 1
; COMPUTE_PGM_RSRC2:TGID_Y_EN: 0
; COMPUTE_PGM_RSRC2:TGID_Z_EN: 1
; COMPUTE_PGM_RSRC2:TIDIG_COMP_CNT: 0
	.section	.text._ZL22rocblas_sswap_2_kernelILi256EP19rocblas_complex_numIfEEviT0_llS3_lli,"axG",@progbits,_ZL22rocblas_sswap_2_kernelILi256EP19rocblas_complex_numIfEEviT0_llS3_lli,comdat
	.globl	_ZL22rocblas_sswap_2_kernelILi256EP19rocblas_complex_numIfEEviT0_llS3_lli ; -- Begin function _ZL22rocblas_sswap_2_kernelILi256EP19rocblas_complex_numIfEEviT0_llS3_lli
	.p2align	8
	.type	_ZL22rocblas_sswap_2_kernelILi256EP19rocblas_complex_numIfEEviT0_llS3_lli,@function
_ZL22rocblas_sswap_2_kernelILi256EP19rocblas_complex_numIfEEviT0_llS3_lli: ; @_ZL22rocblas_sswap_2_kernelILi256EP19rocblas_complex_numIfEEviT0_llS3_lli
; %bb.0:
	s_clause 0x4
	s_load_b128 s[4:7], s[0:1], 0x10
	s_load_b128 s[8:11], s[0:1], 0x28
	s_load_b64 s[12:13], s[0:1], 0x8
	s_load_b64 s[16:17], s[0:1], 0x20
	s_load_b32 s2, s[0:1], 0x0
	v_dual_mov_b32 v3, 0 :: v_dual_lshlrev_b32 v0, 1, v0
	s_delay_alu instid0(VALU_DEP_1) | instskip(NEXT) | instid1(VALU_DEP_1)
	v_lshl_or_b32 v2, s14, 9, v0
	v_lshlrev_b64 v[0:1], 3, v[2:3]
	s_waitcnt lgkmcnt(0)
	s_mul_i32 s1, s15, s7
	s_mul_hi_u32 s3, s15, s6
	s_mul_i32 s0, s15, s6
	s_add_i32 s1, s3, s1
	s_mul_i32 s7, s15, s11
	s_lshl_b64 s[0:1], s[0:1], 3
	s_mul_hi_u32 s11, s15, s10
	s_add_u32 s3, s12, s0
	s_addc_u32 s12, s13, s1
	s_lshl_b64 s[0:1], s[4:5], 3
	s_mul_i32 s6, s15, s10
	s_add_u32 s3, s3, s0
	s_addc_u32 s4, s12, s1
	s_add_i32 s7, s11, s7
	s_delay_alu instid0(SALU_CYCLE_1) | instskip(SKIP_4) | instid1(SALU_CYCLE_1)
	s_lshl_b64 s[0:1], s[6:7], 3
	s_mov_b32 s7, exec_lo
	s_add_u32 s5, s16, s0
	s_addc_u32 s6, s17, s1
	s_lshl_b64 s[0:1], s[8:9], 3
	s_add_u32 s5, s5, s0
	s_addc_u32 s6, s6, s1
	s_add_i32 s0, s2, -1
	s_delay_alu instid0(SALU_CYCLE_1) | instskip(NEXT) | instid1(SALU_CYCLE_1)
	s_ashr_i32 s1, s0, 31
	v_cmpx_gt_i64_e64 s[0:1], v[2:3]
	s_cbranch_execz .LBB5_2
; %bb.1:
	v_add_co_u32 v12, vcc_lo, s3, v0
	v_add_co_ci_u32_e32 v13, vcc_lo, s4, v1, vcc_lo
	v_add_co_u32 v14, vcc_lo, s5, v0
	v_add_co_ci_u32_e32 v15, vcc_lo, s6, v1, vcc_lo
	global_load_b128 v[4:7], v[12:13], off
	global_load_b128 v[8:11], v[14:15], off
	s_waitcnt vmcnt(1)
	global_store_b128 v[14:15], v[4:7], off
	s_waitcnt vmcnt(0)
	global_store_b128 v[12:13], v[8:11], off
.LBB5_2:
	s_or_b32 exec_lo, exec_lo, s7
	v_cmp_eq_u64_e32 vcc_lo, s[0:1], v[2:3]
	s_bitcmp1_b32 s2, 0
	s_cselect_b32 s0, -1, 0
	s_delay_alu instid0(SALU_CYCLE_1) | instskip(NEXT) | instid1(SALU_CYCLE_1)
	s_and_b32 s0, s0, vcc_lo
	s_and_saveexec_b32 s1, s0
	s_cbranch_execz .LBB5_4
; %bb.3:
	v_add_co_u32 v2, vcc_lo, s3, v0
	v_add_co_ci_u32_e32 v3, vcc_lo, s4, v1, vcc_lo
	v_add_co_u32 v0, vcc_lo, s5, v0
	v_add_co_ci_u32_e32 v1, vcc_lo, s6, v1, vcc_lo
	global_load_b64 v[4:5], v[2:3], off
	global_load_b64 v[6:7], v[0:1], off
	s_waitcnt vmcnt(1)
	global_store_b64 v[0:1], v[4:5], off
	s_waitcnt vmcnt(0)
	global_store_b64 v[2:3], v[6:7], off
.LBB5_4:
	s_nop 0
	s_sendmsg sendmsg(MSG_DEALLOC_VGPRS)
	s_endpgm
	.section	.rodata,"a",@progbits
	.p2align	6, 0x0
	.amdhsa_kernel _ZL22rocblas_sswap_2_kernelILi256EP19rocblas_complex_numIfEEviT0_llS3_lli
		.amdhsa_group_segment_fixed_size 0
		.amdhsa_private_segment_fixed_size 0
		.amdhsa_kernarg_size 60
		.amdhsa_user_sgpr_count 14
		.amdhsa_user_sgpr_dispatch_ptr 0
		.amdhsa_user_sgpr_queue_ptr 0
		.amdhsa_user_sgpr_kernarg_segment_ptr 1
		.amdhsa_user_sgpr_dispatch_id 0
		.amdhsa_user_sgpr_private_segment_size 0
		.amdhsa_wavefront_size32 1
		.amdhsa_uses_dynamic_stack 0
		.amdhsa_enable_private_segment 0
		.amdhsa_system_sgpr_workgroup_id_x 1
		.amdhsa_system_sgpr_workgroup_id_y 0
		.amdhsa_system_sgpr_workgroup_id_z 1
		.amdhsa_system_sgpr_workgroup_info 0
		.amdhsa_system_vgpr_workitem_id 0
		.amdhsa_next_free_vgpr 16
		.amdhsa_next_free_sgpr 18
		.amdhsa_reserve_vcc 1
		.amdhsa_float_round_mode_32 0
		.amdhsa_float_round_mode_16_64 0
		.amdhsa_float_denorm_mode_32 3
		.amdhsa_float_denorm_mode_16_64 3
		.amdhsa_dx10_clamp 1
		.amdhsa_ieee_mode 1
		.amdhsa_fp16_overflow 0
		.amdhsa_workgroup_processor_mode 1
		.amdhsa_memory_ordered 1
		.amdhsa_forward_progress 0
		.amdhsa_shared_vgpr_count 0
		.amdhsa_exception_fp_ieee_invalid_op 0
		.amdhsa_exception_fp_denorm_src 0
		.amdhsa_exception_fp_ieee_div_zero 0
		.amdhsa_exception_fp_ieee_overflow 0
		.amdhsa_exception_fp_ieee_underflow 0
		.amdhsa_exception_fp_ieee_inexact 0
		.amdhsa_exception_int_div_zero 0
	.end_amdhsa_kernel
	.section	.text._ZL22rocblas_sswap_2_kernelILi256EP19rocblas_complex_numIfEEviT0_llS3_lli,"axG",@progbits,_ZL22rocblas_sswap_2_kernelILi256EP19rocblas_complex_numIfEEviT0_llS3_lli,comdat
.Lfunc_end5:
	.size	_ZL22rocblas_sswap_2_kernelILi256EP19rocblas_complex_numIfEEviT0_llS3_lli, .Lfunc_end5-_ZL22rocblas_sswap_2_kernelILi256EP19rocblas_complex_numIfEEviT0_llS3_lli
                                        ; -- End function
	.section	.AMDGPU.csdata,"",@progbits
; Kernel info:
; codeLenInByte = 360
; NumSgprs: 20
; NumVgprs: 16
; ScratchSize: 0
; MemoryBound: 0
; FloatMode: 240
; IeeeMode: 1
; LDSByteSize: 0 bytes/workgroup (compile time only)
; SGPRBlocks: 2
; VGPRBlocks: 1
; NumSGPRsForWavesPerEU: 20
; NumVGPRsForWavesPerEU: 16
; Occupancy: 16
; WaveLimiterHint : 0
; COMPUTE_PGM_RSRC2:SCRATCH_EN: 0
; COMPUTE_PGM_RSRC2:USER_SGPR: 14
; COMPUTE_PGM_RSRC2:TRAP_HANDLER: 0
; COMPUTE_PGM_RSRC2:TGID_X_EN: 1
; COMPUTE_PGM_RSRC2:TGID_Y_EN: 0
; COMPUTE_PGM_RSRC2:TGID_Z_EN: 1
; COMPUTE_PGM_RSRC2:TIDIG_COMP_CNT: 0
	.section	.text._ZL19rocblas_swap_kernelIiLi256EP19rocblas_complex_numIdEEviT1_lT_lS3_lS4_li,"axG",@progbits,_ZL19rocblas_swap_kernelIiLi256EP19rocblas_complex_numIdEEviT1_lT_lS3_lS4_li,comdat
	.globl	_ZL19rocblas_swap_kernelIiLi256EP19rocblas_complex_numIdEEviT1_lT_lS3_lS4_li ; -- Begin function _ZL19rocblas_swap_kernelIiLi256EP19rocblas_complex_numIdEEviT1_lT_lS3_lS4_li
	.p2align	8
	.type	_ZL19rocblas_swap_kernelIiLi256EP19rocblas_complex_numIdEEviT1_lT_lS3_lS4_li,@function
_ZL19rocblas_swap_kernelIiLi256EP19rocblas_complex_numIdEEviT1_lT_lS3_lS4_li: ; @_ZL19rocblas_swap_kernelIiLi256EP19rocblas_complex_numIdEEviT1_lT_lS3_lS4_li
; %bb.0:
	s_load_b32 s4, s[2:3], 0x0
	v_dual_mov_b32 v2, 0 :: v_dual_and_b32 v3, 0x3ff, v0
	s_delay_alu instid0(VALU_DEP_1)
	v_lshl_or_b32 v1, s14, 8, v3
	s_waitcnt lgkmcnt(0)
	s_ashr_i32 s5, s4, 31
	s_delay_alu instid0(VALU_DEP_1) | instid1(SALU_CYCLE_1)
	v_cmp_gt_i64_e32 vcc_lo, s[4:5], v[1:2]
	s_and_saveexec_b32 s4, vcc_lo
	s_cbranch_execz .LBB6_2
; %bb.1:
	s_clause 0x1
	s_load_b32 s14, s[2:3], 0x18
	s_load_b32 s16, s[2:3], 0x38
	s_load_b64 s[8:9], s[0:1], 0x4
	s_clause 0x3
	s_load_b64 s[10:11], s[2:3], 0x40
	s_load_b128 s[4:7], s[2:3], 0x20
	s_load_b64 s[12:13], s[2:3], 0x30
	s_load_b128 s[0:3], s[2:3], 0x8
	v_bfe_u32 v14, v0, 10, 10
	v_bfe_u32 v0, v0, 20, 10
	s_waitcnt lgkmcnt(0)
	v_mad_u64_u32 v[6:7], null, s14, v1, 0
	v_mad_u64_u32 v[4:5], null, s16, v1, 0
	s_ashr_i32 s18, s16, 31
	s_ashr_i32 s17, s14, 31
	s_mul_i32 s11, s15, s11
	s_mul_hi_u32 s19, s15, s10
	s_mul_i32 s10, s15, s10
	s_add_i32 s11, s19, s11
	s_delay_alu instid0(VALU_DEP_1) | instskip(SKIP_3) | instid1(VALU_DEP_1)
	v_dual_mov_b32 v2, v5 :: v_dual_mov_b32 v5, v7
	s_lshl_b64 s[10:11], s[10:11], 4
	s_lshr_b32 s8, s8, 16
	s_add_u32 s10, s6, s10
	v_mad_u64_u32 v[7:8], null, s18, v1, v[2:3]
	v_mad_u64_u32 v[8:9], null, s17, v1, v[5:6]
	s_addc_u32 s11, s7, s11
	s_lshl_b64 s[6:7], s[12:13], 4
	s_mul_i32 s5, s15, s5
	s_mul_hi_u32 s14, s15, s4
	s_delay_alu instid0(VALU_DEP_2) | instskip(SKIP_1) | instid1(VALU_DEP_2)
	v_mov_b32_e32 v5, v7
	s_add_u32 s6, s10, s6
	v_mov_b32_e32 v7, v8
	s_mul_i32 s4, s15, s4
	s_addc_u32 s7, s11, s7
	s_add_i32 s5, s14, s5
	v_lshlrev_b64 v[1:2], 4, v[4:5]
	s_lshl_b64 s[4:5], s[4:5], 4
	v_lshlrev_b64 v[4:5], 4, v[6:7]
	s_add_u32 s4, s0, s4
	s_addc_u32 s5, s1, s5
	s_lshl_b64 s[0:1], s[2:3], 4
	v_add_co_u32 v1, vcc_lo, s6, v1
	s_add_u32 s0, s4, s0
	v_add_co_ci_u32_e32 v2, vcc_lo, s7, v2, vcc_lo
	s_addc_u32 s1, s5, s1
	v_add_co_u32 v12, vcc_lo, s0, v4
	v_add_co_ci_u32_e32 v13, vcc_lo, s1, v5, vcc_lo
	global_load_b128 v[4:7], v[1:2], off
	global_load_b128 v[8:11], v[12:13], off
	s_mul_i32 s8, s8, s9
	s_delay_alu instid0(SALU_CYCLE_1) | instskip(NEXT) | instid1(VALU_DEP_1)
	v_mul_lo_u32 v3, s8, v3
	v_mad_u32_u24 v3, v14, s9, v3
	s_delay_alu instid0(VALU_DEP_1)
	v_add_lshl_u32 v0, v3, v0, 4
	s_waitcnt vmcnt(1)
	ds_store_2addr_b64 v0, v[4:5], v[6:7] offset1:1
	s_waitcnt vmcnt(0)
	global_store_b128 v[1:2], v[8:11], off
	global_store_b128 v[12:13], v[4:7], off
.LBB6_2:
	s_nop 0
	s_sendmsg sendmsg(MSG_DEALLOC_VGPRS)
	s_endpgm
	.section	.rodata,"a",@progbits
	.p2align	6, 0x0
	.amdhsa_kernel _ZL19rocblas_swap_kernelIiLi256EP19rocblas_complex_numIdEEviT1_lT_lS3_lS4_li
		.amdhsa_group_segment_fixed_size 4096
		.amdhsa_private_segment_fixed_size 0
		.amdhsa_kernarg_size 76
		.amdhsa_user_sgpr_count 14
		.amdhsa_user_sgpr_dispatch_ptr 1
		.amdhsa_user_sgpr_queue_ptr 0
		.amdhsa_user_sgpr_kernarg_segment_ptr 1
		.amdhsa_user_sgpr_dispatch_id 0
		.amdhsa_user_sgpr_private_segment_size 0
		.amdhsa_wavefront_size32 1
		.amdhsa_uses_dynamic_stack 0
		.amdhsa_enable_private_segment 0
		.amdhsa_system_sgpr_workgroup_id_x 1
		.amdhsa_system_sgpr_workgroup_id_y 0
		.amdhsa_system_sgpr_workgroup_id_z 1
		.amdhsa_system_sgpr_workgroup_info 0
		.amdhsa_system_vgpr_workitem_id 2
		.amdhsa_next_free_vgpr 15
		.amdhsa_next_free_sgpr 20
		.amdhsa_reserve_vcc 1
		.amdhsa_float_round_mode_32 0
		.amdhsa_float_round_mode_16_64 0
		.amdhsa_float_denorm_mode_32 3
		.amdhsa_float_denorm_mode_16_64 3
		.amdhsa_dx10_clamp 1
		.amdhsa_ieee_mode 1
		.amdhsa_fp16_overflow 0
		.amdhsa_workgroup_processor_mode 1
		.amdhsa_memory_ordered 1
		.amdhsa_forward_progress 0
		.amdhsa_shared_vgpr_count 0
		.amdhsa_exception_fp_ieee_invalid_op 0
		.amdhsa_exception_fp_denorm_src 0
		.amdhsa_exception_fp_ieee_div_zero 0
		.amdhsa_exception_fp_ieee_overflow 0
		.amdhsa_exception_fp_ieee_underflow 0
		.amdhsa_exception_fp_ieee_inexact 0
		.amdhsa_exception_int_div_zero 0
	.end_amdhsa_kernel
	.section	.text._ZL19rocblas_swap_kernelIiLi256EP19rocblas_complex_numIdEEviT1_lT_lS3_lS4_li,"axG",@progbits,_ZL19rocblas_swap_kernelIiLi256EP19rocblas_complex_numIdEEviT1_lT_lS3_lS4_li,comdat
.Lfunc_end6:
	.size	_ZL19rocblas_swap_kernelIiLi256EP19rocblas_complex_numIdEEviT1_lT_lS3_lS4_li, .Lfunc_end6-_ZL19rocblas_swap_kernelIiLi256EP19rocblas_complex_numIdEEviT1_lT_lS3_lS4_li
                                        ; -- End function
	.section	.AMDGPU.csdata,"",@progbits
; Kernel info:
; codeLenInByte = 424
; NumSgprs: 22
; NumVgprs: 15
; ScratchSize: 0
; MemoryBound: 0
; FloatMode: 240
; IeeeMode: 1
; LDSByteSize: 4096 bytes/workgroup (compile time only)
; SGPRBlocks: 2
; VGPRBlocks: 1
; NumSGPRsForWavesPerEU: 22
; NumVGPRsForWavesPerEU: 15
; Occupancy: 16
; WaveLimiterHint : 0
; COMPUTE_PGM_RSRC2:SCRATCH_EN: 0
; COMPUTE_PGM_RSRC2:USER_SGPR: 14
; COMPUTE_PGM_RSRC2:TRAP_HANDLER: 0
; COMPUTE_PGM_RSRC2:TGID_X_EN: 1
; COMPUTE_PGM_RSRC2:TGID_Y_EN: 0
; COMPUTE_PGM_RSRC2:TGID_Z_EN: 1
; COMPUTE_PGM_RSRC2:TIDIG_COMP_CNT: 2
	.section	.text._ZL22rocblas_sswap_2_kernelILi256EP19rocblas_complex_numIdEEviT0_llS3_lli,"axG",@progbits,_ZL22rocblas_sswap_2_kernelILi256EP19rocblas_complex_numIdEEviT0_llS3_lli,comdat
	.globl	_ZL22rocblas_sswap_2_kernelILi256EP19rocblas_complex_numIdEEviT0_llS3_lli ; -- Begin function _ZL22rocblas_sswap_2_kernelILi256EP19rocblas_complex_numIdEEviT0_llS3_lli
	.p2align	8
	.type	_ZL22rocblas_sswap_2_kernelILi256EP19rocblas_complex_numIdEEviT0_llS3_lli,@function
_ZL22rocblas_sswap_2_kernelILi256EP19rocblas_complex_numIdEEviT0_llS3_lli: ; @_ZL22rocblas_sswap_2_kernelILi256EP19rocblas_complex_numIdEEviT0_llS3_lli
; %bb.0:
	s_load_b64 s[0:1], s[0:1], 0x4
	s_clause 0x4
	s_load_b128 s[16:19], s[2:3], 0x10
	s_load_b128 s[4:7], s[2:3], 0x28
	s_load_b64 s[10:11], s[2:3], 0x8
	s_load_b32 s8, s[2:3], 0x0
	s_load_b64 s[12:13], s[2:3], 0x20
	v_dual_mov_b32 v1, 0 :: v_dual_and_b32 v2, 0x3ff, v0
	v_bfe_u32 v3, v0, 10, 10
	v_bfe_u32 v4, v0, 20, 10
	s_delay_alu instid0(VALU_DEP_3) | instskip(NEXT) | instid1(VALU_DEP_1)
	v_lshlrev_b32_e32 v0, 1, v2
	v_lshl_or_b32 v0, s14, 9, v0
	s_waitcnt lgkmcnt(0)
	s_lshr_b32 s0, s0, 16
	s_mul_i32 s3, s15, s19
	s_mul_hi_u32 s9, s15, s18
	s_mul_i32 s2, s15, s18
	s_add_i32 s3, s9, s3
	s_mul_i32 s0, s0, s1
	s_lshl_b64 s[2:3], s[2:3], 4
	s_mul_i32 s7, s15, s7
	s_add_u32 s10, s10, s2
	s_addc_u32 s11, s11, s3
	s_lshl_b64 s[2:3], s[16:17], 4
	s_mul_hi_u32 s9, s15, s6
	s_add_u32 s2, s10, s2
	v_mul_lo_u32 v5, s0, v2
	s_mul_i32 s6, s15, s6
	s_addc_u32 s3, s11, s3
	s_add_i32 s7, s9, s7
	v_mul_u32_u24_e32 v6, s1, v3
	s_lshl_b64 s[6:7], s[6:7], 4
	v_lshlrev_b64 v[2:3], 4, v[0:1]
	s_add_u32 s6, s12, s6
	s_addc_u32 s7, s13, s7
	s_lshl_b64 s[4:5], s[4:5], 4
	v_add3_u32 v4, v5, v6, v4
	s_add_u32 s4, s6, s4
	s_addc_u32 s5, s7, s5
	s_add_i32 s0, s8, -1
	s_mov_b32 s6, exec_lo
	s_ashr_i32 s1, s0, 31
	s_delay_alu instid0(SALU_CYCLE_1)
	v_cmpx_gt_i64_e64 s[0:1], v[0:1]
	s_cbranch_execz .LBB7_2
; %bb.1:
	v_add_co_u32 v21, vcc_lo, s4, v2
	v_add_co_ci_u32_e32 v22, vcc_lo, s5, v3, vcc_lo
	v_add_co_u32 v23, vcc_lo, s2, v2
	v_add_co_ci_u32_e32 v24, vcc_lo, s3, v3, vcc_lo
	v_lshlrev_b32_e32 v25, 4, v4
	global_load_b128 v[5:8], v[21:22], off offset:16
	s_clause 0x1
	global_load_b128 v[9:12], v[23:24], off
	global_load_b128 v[13:16], v[23:24], off offset:16
	global_load_b128 v[17:20], v[21:22], off
	s_waitcnt vmcnt(3)
	ds_store_2addr_b64 v25, v[5:6], v[7:8] offset1:1
	s_waitcnt vmcnt(2)
	global_store_b128 v[21:22], v[9:12], off
	s_waitcnt vmcnt(1)
	global_store_b128 v[21:22], v[13:16], off offset:16
	s_waitcnt vmcnt(0)
	s_clause 0x1
	global_store_b128 v[23:24], v[17:20], off
	global_store_b128 v[23:24], v[5:8], off offset:16
.LBB7_2:
	s_or_b32 exec_lo, exec_lo, s6
	v_cmp_eq_u64_e32 vcc_lo, s[0:1], v[0:1]
	s_bitcmp1_b32 s8, 0
	s_cselect_b32 s0, -1, 0
	s_delay_alu instid0(SALU_CYCLE_1) | instskip(NEXT) | instid1(SALU_CYCLE_1)
	s_and_b32 s0, s0, vcc_lo
	s_and_saveexec_b32 s1, s0
	s_cbranch_execz .LBB7_4
; %bb.3:
	v_add_co_u32 v9, vcc_lo, s4, v2
	v_add_co_ci_u32_e32 v10, vcc_lo, s5, v3, vcc_lo
	v_add_co_u32 v11, vcc_lo, s2, v2
	v_add_co_ci_u32_e32 v12, vcc_lo, s3, v3, vcc_lo
	v_lshl_add_u32 v4, v4, 4, 0x1000
	global_load_b128 v[0:3], v[9:10], off
	global_load_b128 v[5:8], v[11:12], off
	s_waitcnt vmcnt(1)
	ds_store_2addr_b64 v4, v[0:1], v[2:3] offset1:1
	s_waitcnt vmcnt(0)
	global_store_b128 v[9:10], v[5:8], off
	global_store_b128 v[11:12], v[0:3], off
.LBB7_4:
	s_nop 0
	s_sendmsg sendmsg(MSG_DEALLOC_VGPRS)
	s_endpgm
	.section	.rodata,"a",@progbits
	.p2align	6, 0x0
	.amdhsa_kernel _ZL22rocblas_sswap_2_kernelILi256EP19rocblas_complex_numIdEEviT0_llS3_lli
		.amdhsa_group_segment_fixed_size 8192
		.amdhsa_private_segment_fixed_size 0
		.amdhsa_kernarg_size 60
		.amdhsa_user_sgpr_count 14
		.amdhsa_user_sgpr_dispatch_ptr 1
		.amdhsa_user_sgpr_queue_ptr 0
		.amdhsa_user_sgpr_kernarg_segment_ptr 1
		.amdhsa_user_sgpr_dispatch_id 0
		.amdhsa_user_sgpr_private_segment_size 0
		.amdhsa_wavefront_size32 1
		.amdhsa_uses_dynamic_stack 0
		.amdhsa_enable_private_segment 0
		.amdhsa_system_sgpr_workgroup_id_x 1
		.amdhsa_system_sgpr_workgroup_id_y 0
		.amdhsa_system_sgpr_workgroup_id_z 1
		.amdhsa_system_sgpr_workgroup_info 0
		.amdhsa_system_vgpr_workitem_id 2
		.amdhsa_next_free_vgpr 26
		.amdhsa_next_free_sgpr 20
		.amdhsa_reserve_vcc 1
		.amdhsa_float_round_mode_32 0
		.amdhsa_float_round_mode_16_64 0
		.amdhsa_float_denorm_mode_32 3
		.amdhsa_float_denorm_mode_16_64 3
		.amdhsa_dx10_clamp 1
		.amdhsa_ieee_mode 1
		.amdhsa_fp16_overflow 0
		.amdhsa_workgroup_processor_mode 1
		.amdhsa_memory_ordered 1
		.amdhsa_forward_progress 0
		.amdhsa_shared_vgpr_count 0
		.amdhsa_exception_fp_ieee_invalid_op 0
		.amdhsa_exception_fp_denorm_src 0
		.amdhsa_exception_fp_ieee_div_zero 0
		.amdhsa_exception_fp_ieee_overflow 0
		.amdhsa_exception_fp_ieee_underflow 0
		.amdhsa_exception_fp_ieee_inexact 0
		.amdhsa_exception_int_div_zero 0
	.end_amdhsa_kernel
	.section	.text._ZL22rocblas_sswap_2_kernelILi256EP19rocblas_complex_numIdEEviT0_llS3_lli,"axG",@progbits,_ZL22rocblas_sswap_2_kernelILi256EP19rocblas_complex_numIdEEviT0_llS3_lli,comdat
.Lfunc_end7:
	.size	_ZL22rocblas_sswap_2_kernelILi256EP19rocblas_complex_numIdEEviT0_llS3_lli, .Lfunc_end7-_ZL22rocblas_sswap_2_kernelILi256EP19rocblas_complex_numIdEEviT0_llS3_lli
                                        ; -- End function
	.section	.AMDGPU.csdata,"",@progbits
; Kernel info:
; codeLenInByte = 496
; NumSgprs: 22
; NumVgprs: 26
; ScratchSize: 0
; MemoryBound: 0
; FloatMode: 240
; IeeeMode: 1
; LDSByteSize: 8192 bytes/workgroup (compile time only)
; SGPRBlocks: 2
; VGPRBlocks: 3
; NumSGPRsForWavesPerEU: 22
; NumVGPRsForWavesPerEU: 26
; Occupancy: 16
; WaveLimiterHint : 0
; COMPUTE_PGM_RSRC2:SCRATCH_EN: 0
; COMPUTE_PGM_RSRC2:USER_SGPR: 14
; COMPUTE_PGM_RSRC2:TRAP_HANDLER: 0
; COMPUTE_PGM_RSRC2:TGID_X_EN: 1
; COMPUTE_PGM_RSRC2:TGID_Y_EN: 0
; COMPUTE_PGM_RSRC2:TGID_Z_EN: 1
; COMPUTE_PGM_RSRC2:TIDIG_COMP_CNT: 2
	.section	.text._ZL19rocblas_swap_kernelIiLi256EPKPfEviT1_lT_lS3_lS4_li,"axG",@progbits,_ZL19rocblas_swap_kernelIiLi256EPKPfEviT1_lT_lS3_lS4_li,comdat
	.globl	_ZL19rocblas_swap_kernelIiLi256EPKPfEviT1_lT_lS3_lS4_li ; -- Begin function _ZL19rocblas_swap_kernelIiLi256EPKPfEviT1_lT_lS3_lS4_li
	.p2align	8
	.type	_ZL19rocblas_swap_kernelIiLi256EPKPfEviT1_lT_lS3_lS4_li,@function
_ZL19rocblas_swap_kernelIiLi256EPKPfEviT1_lT_lS3_lS4_li: ; @_ZL19rocblas_swap_kernelIiLi256EPKPfEviT1_lT_lS3_lS4_li
; %bb.0:
	s_load_b32 s4, s[0:1], 0x0
	v_lshl_or_b32 v0, s14, 8, v0
	v_mov_b32_e32 v1, 0
	s_mov_b32 s3, exec_lo
	s_waitcnt lgkmcnt(0)
	s_ashr_i32 s5, s4, 31
	s_delay_alu instid0(VALU_DEP_1) | instid1(SALU_CYCLE_1)
	v_cmpx_gt_i64_e64 s[4:5], v[0:1]
	s_cbranch_execz .LBB8_2
; %bb.1:
	s_clause 0x2
	s_load_b32 s10, s[0:1], 0x18
	s_load_b32 s11, s[0:1], 0x38
	s_load_b128 s[4:7], s[0:1], 0x28
	s_mov_b32 s2, s15
	s_mov_b32 s3, 0
	s_delay_alu instid0(SALU_CYCLE_1)
	s_lshl_b64 s[8:9], s[2:3], 3
	s_waitcnt lgkmcnt(0)
	s_ashr_i32 s12, s10, 31
	s_ashr_i32 s13, s11, 31
	s_add_u32 s2, s4, s8
	s_addc_u32 s3, s5, s9
	v_mad_u64_u32 v[1:2], null, s10, v0, 0
	s_load_b64 s[4:5], s[2:3], 0x0
	s_load_b128 s[0:3], s[0:1], 0x8
	v_mad_u64_u32 v[3:4], null, s11, v0, 0
	s_lshl_b64 s[6:7], s[6:7], 2
	s_delay_alu instid0(VALU_DEP_1) | instskip(NEXT) | instid1(VALU_DEP_1)
	v_mad_u64_u32 v[5:6], null, s12, v0, v[2:3]
	v_mad_u64_u32 v[6:7], null, s13, v0, v[4:5]
	s_waitcnt lgkmcnt(0)
	s_add_u32 s4, s4, s6
	s_addc_u32 s5, s5, s7
	s_add_u32 s0, s0, s8
	s_addc_u32 s1, s1, s9
	v_mov_b32_e32 v2, v5
	s_load_b64 s[0:1], s[0:1], 0x0
	v_mov_b32_e32 v4, v6
	s_lshl_b64 s[2:3], s[2:3], 2
	s_delay_alu instid0(VALU_DEP_2) | instskip(NEXT) | instid1(VALU_DEP_2)
	v_lshlrev_b64 v[0:1], 2, v[1:2]
	v_lshlrev_b64 v[2:3], 2, v[3:4]
	s_waitcnt lgkmcnt(0)
	s_add_u32 s0, s0, s2
	s_addc_u32 s1, s1, s3
	s_delay_alu instid0(VALU_DEP_2)
	v_add_co_u32 v0, vcc_lo, s0, v0
	v_add_co_ci_u32_e32 v1, vcc_lo, s1, v1, vcc_lo
	v_add_co_u32 v2, vcc_lo, s4, v2
	v_add_co_ci_u32_e32 v3, vcc_lo, s5, v3, vcc_lo
	global_load_b32 v4, v[0:1], off
	global_load_b32 v5, v[2:3], off
	s_waitcnt vmcnt(1)
	global_store_b32 v[2:3], v4, off
	s_waitcnt vmcnt(0)
	global_store_b32 v[0:1], v5, off
.LBB8_2:
	s_nop 0
	s_sendmsg sendmsg(MSG_DEALLOC_VGPRS)
	s_endpgm
	.section	.rodata,"a",@progbits
	.p2align	6, 0x0
	.amdhsa_kernel _ZL19rocblas_swap_kernelIiLi256EPKPfEviT1_lT_lS3_lS4_li
		.amdhsa_group_segment_fixed_size 0
		.amdhsa_private_segment_fixed_size 0
		.amdhsa_kernarg_size 76
		.amdhsa_user_sgpr_count 14
		.amdhsa_user_sgpr_dispatch_ptr 0
		.amdhsa_user_sgpr_queue_ptr 0
		.amdhsa_user_sgpr_kernarg_segment_ptr 1
		.amdhsa_user_sgpr_dispatch_id 0
		.amdhsa_user_sgpr_private_segment_size 0
		.amdhsa_wavefront_size32 1
		.amdhsa_uses_dynamic_stack 0
		.amdhsa_enable_private_segment 0
		.amdhsa_system_sgpr_workgroup_id_x 1
		.amdhsa_system_sgpr_workgroup_id_y 0
		.amdhsa_system_sgpr_workgroup_id_z 1
		.amdhsa_system_sgpr_workgroup_info 0
		.amdhsa_system_vgpr_workitem_id 0
		.amdhsa_next_free_vgpr 8
		.amdhsa_next_free_sgpr 16
		.amdhsa_reserve_vcc 1
		.amdhsa_float_round_mode_32 0
		.amdhsa_float_round_mode_16_64 0
		.amdhsa_float_denorm_mode_32 3
		.amdhsa_float_denorm_mode_16_64 3
		.amdhsa_dx10_clamp 1
		.amdhsa_ieee_mode 1
		.amdhsa_fp16_overflow 0
		.amdhsa_workgroup_processor_mode 1
		.amdhsa_memory_ordered 1
		.amdhsa_forward_progress 0
		.amdhsa_shared_vgpr_count 0
		.amdhsa_exception_fp_ieee_invalid_op 0
		.amdhsa_exception_fp_denorm_src 0
		.amdhsa_exception_fp_ieee_div_zero 0
		.amdhsa_exception_fp_ieee_overflow 0
		.amdhsa_exception_fp_ieee_underflow 0
		.amdhsa_exception_fp_ieee_inexact 0
		.amdhsa_exception_int_div_zero 0
	.end_amdhsa_kernel
	.section	.text._ZL19rocblas_swap_kernelIiLi256EPKPfEviT1_lT_lS3_lS4_li,"axG",@progbits,_ZL19rocblas_swap_kernelIiLi256EPKPfEviT1_lT_lS3_lS4_li,comdat
.Lfunc_end8:
	.size	_ZL19rocblas_swap_kernelIiLi256EPKPfEviT1_lT_lS3_lS4_li, .Lfunc_end8-_ZL19rocblas_swap_kernelIiLi256EPKPfEviT1_lT_lS3_lS4_li
                                        ; -- End function
	.section	.AMDGPU.csdata,"",@progbits
; Kernel info:
; codeLenInByte = 320
; NumSgprs: 18
; NumVgprs: 8
; ScratchSize: 0
; MemoryBound: 0
; FloatMode: 240
; IeeeMode: 1
; LDSByteSize: 0 bytes/workgroup (compile time only)
; SGPRBlocks: 2
; VGPRBlocks: 0
; NumSGPRsForWavesPerEU: 18
; NumVGPRsForWavesPerEU: 8
; Occupancy: 16
; WaveLimiterHint : 1
; COMPUTE_PGM_RSRC2:SCRATCH_EN: 0
; COMPUTE_PGM_RSRC2:USER_SGPR: 14
; COMPUTE_PGM_RSRC2:TRAP_HANDLER: 0
; COMPUTE_PGM_RSRC2:TGID_X_EN: 1
; COMPUTE_PGM_RSRC2:TGID_Y_EN: 0
; COMPUTE_PGM_RSRC2:TGID_Z_EN: 1
; COMPUTE_PGM_RSRC2:TIDIG_COMP_CNT: 0
	.section	.text._ZL22rocblas_sswap_2_kernelILi256EPKPfEviT0_llS3_lli,"axG",@progbits,_ZL22rocblas_sswap_2_kernelILi256EPKPfEviT0_llS3_lli,comdat
	.globl	_ZL22rocblas_sswap_2_kernelILi256EPKPfEviT0_llS3_lli ; -- Begin function _ZL22rocblas_sswap_2_kernelILi256EPKPfEviT0_llS3_lli
	.p2align	8
	.type	_ZL22rocblas_sswap_2_kernelILi256EPKPfEviT0_llS3_lli,@function
_ZL22rocblas_sswap_2_kernelILi256EPKPfEviT0_llS3_lli: ; @_ZL22rocblas_sswap_2_kernelILi256EPKPfEviT0_llS3_lli
; %bb.0:
	s_load_b128 s[4:7], s[0:1], 0x8
	s_mov_b32 s2, s15
	s_mov_b32 s3, 0
	v_dual_mov_b32 v3, 0 :: v_dual_lshlrev_b32 v0, 1, v0
	s_lshl_b64 s[12:13], s[2:3], 3
	s_delay_alu instid0(VALU_DEP_1) | instskip(NEXT) | instid1(VALU_DEP_1)
	v_lshl_or_b32 v2, s14, 9, v0
	v_lshlrev_b64 v[0:1], 2, v[2:3]
	s_waitcnt lgkmcnt(0)
	s_add_u32 s2, s4, s12
	s_addc_u32 s3, s5, s13
	s_lshl_b64 s[4:5], s[6:7], 2
	s_load_b64 s[2:3], s[2:3], 0x0
	s_load_b128 s[8:11], s[0:1], 0x20
	s_mov_b32 s7, exec_lo
	s_waitcnt lgkmcnt(0)
	s_add_u32 s2, s2, s4
	s_addc_u32 s3, s3, s5
	s_add_u32 s4, s8, s12
	s_addc_u32 s5, s9, s13
	s_load_b64 s[4:5], s[4:5], 0x0
	s_load_b32 s6, s[0:1], 0x0
	s_lshl_b64 s[0:1], s[10:11], 2
	s_waitcnt lgkmcnt(0)
	s_add_u32 s4, s4, s0
	s_addc_u32 s5, s5, s1
	s_add_i32 s0, s6, -1
	s_delay_alu instid0(SALU_CYCLE_1) | instskip(NEXT) | instid1(SALU_CYCLE_1)
	s_ashr_i32 s1, s0, 31
	v_cmpx_gt_i64_e64 s[0:1], v[2:3]
	s_cbranch_execz .LBB9_2
; %bb.1:
	v_add_co_u32 v4, vcc_lo, s2, v0
	v_add_co_ci_u32_e32 v5, vcc_lo, s3, v1, vcc_lo
	v_add_co_u32 v6, vcc_lo, s4, v0
	v_add_co_ci_u32_e32 v7, vcc_lo, s5, v1, vcc_lo
	global_load_b32 v8, v[4:5], off
	global_load_b32 v9, v[6:7], off
	s_waitcnt vmcnt(1)
	global_store_b32 v[6:7], v8, off
	s_waitcnt vmcnt(0)
	global_store_b32 v[4:5], v9, off
	global_load_b32 v8, v[4:5], off offset:4
	global_load_b32 v9, v[6:7], off offset:4
	s_waitcnt vmcnt(1)
	global_store_b32 v[6:7], v8, off offset:4
	s_waitcnt vmcnt(0)
	global_store_b32 v[4:5], v9, off offset:4
.LBB9_2:
	s_or_b32 exec_lo, exec_lo, s7
	v_cmp_eq_u64_e32 vcc_lo, s[0:1], v[2:3]
	s_bitcmp1_b32 s6, 0
	s_cselect_b32 s0, -1, 0
	s_delay_alu instid0(SALU_CYCLE_1) | instskip(NEXT) | instid1(SALU_CYCLE_1)
	s_and_b32 s0, s0, vcc_lo
	s_and_saveexec_b32 s1, s0
	s_cbranch_execz .LBB9_4
; %bb.3:
	v_add_co_u32 v2, vcc_lo, s2, v0
	v_add_co_ci_u32_e32 v3, vcc_lo, s3, v1, vcc_lo
	v_add_co_u32 v0, vcc_lo, s4, v0
	v_add_co_ci_u32_e32 v1, vcc_lo, s5, v1, vcc_lo
	global_load_b32 v4, v[2:3], off
	global_load_b32 v5, v[0:1], off
	s_waitcnt vmcnt(1)
	global_store_b32 v[0:1], v4, off
	s_waitcnt vmcnt(0)
	global_store_b32 v[2:3], v5, off
.LBB9_4:
	s_nop 0
	s_sendmsg sendmsg(MSG_DEALLOC_VGPRS)
	s_endpgm
	.section	.rodata,"a",@progbits
	.p2align	6, 0x0
	.amdhsa_kernel _ZL22rocblas_sswap_2_kernelILi256EPKPfEviT0_llS3_lli
		.amdhsa_group_segment_fixed_size 0
		.amdhsa_private_segment_fixed_size 0
		.amdhsa_kernarg_size 60
		.amdhsa_user_sgpr_count 14
		.amdhsa_user_sgpr_dispatch_ptr 0
		.amdhsa_user_sgpr_queue_ptr 0
		.amdhsa_user_sgpr_kernarg_segment_ptr 1
		.amdhsa_user_sgpr_dispatch_id 0
		.amdhsa_user_sgpr_private_segment_size 0
		.amdhsa_wavefront_size32 1
		.amdhsa_uses_dynamic_stack 0
		.amdhsa_enable_private_segment 0
		.amdhsa_system_sgpr_workgroup_id_x 1
		.amdhsa_system_sgpr_workgroup_id_y 0
		.amdhsa_system_sgpr_workgroup_id_z 1
		.amdhsa_system_sgpr_workgroup_info 0
		.amdhsa_system_vgpr_workitem_id 0
		.amdhsa_next_free_vgpr 10
		.amdhsa_next_free_sgpr 16
		.amdhsa_reserve_vcc 1
		.amdhsa_float_round_mode_32 0
		.amdhsa_float_round_mode_16_64 0
		.amdhsa_float_denorm_mode_32 3
		.amdhsa_float_denorm_mode_16_64 3
		.amdhsa_dx10_clamp 1
		.amdhsa_ieee_mode 1
		.amdhsa_fp16_overflow 0
		.amdhsa_workgroup_processor_mode 1
		.amdhsa_memory_ordered 1
		.amdhsa_forward_progress 0
		.amdhsa_shared_vgpr_count 0
		.amdhsa_exception_fp_ieee_invalid_op 0
		.amdhsa_exception_fp_denorm_src 0
		.amdhsa_exception_fp_ieee_div_zero 0
		.amdhsa_exception_fp_ieee_overflow 0
		.amdhsa_exception_fp_ieee_underflow 0
		.amdhsa_exception_fp_ieee_inexact 0
		.amdhsa_exception_int_div_zero 0
	.end_amdhsa_kernel
	.section	.text._ZL22rocblas_sswap_2_kernelILi256EPKPfEviT0_llS3_lli,"axG",@progbits,_ZL22rocblas_sswap_2_kernelILi256EPKPfEviT0_llS3_lli,comdat
.Lfunc_end9:
	.size	_ZL22rocblas_sswap_2_kernelILi256EPKPfEviT0_llS3_lli, .Lfunc_end9-_ZL22rocblas_sswap_2_kernelILi256EPKPfEviT0_llS3_lli
                                        ; -- End function
	.section	.AMDGPU.csdata,"",@progbits
; Kernel info:
; codeLenInByte = 372
; NumSgprs: 18
; NumVgprs: 10
; ScratchSize: 0
; MemoryBound: 0
; FloatMode: 240
; IeeeMode: 1
; LDSByteSize: 0 bytes/workgroup (compile time only)
; SGPRBlocks: 2
; VGPRBlocks: 1
; NumSGPRsForWavesPerEU: 18
; NumVGPRsForWavesPerEU: 10
; Occupancy: 16
; WaveLimiterHint : 1
; COMPUTE_PGM_RSRC2:SCRATCH_EN: 0
; COMPUTE_PGM_RSRC2:USER_SGPR: 14
; COMPUTE_PGM_RSRC2:TRAP_HANDLER: 0
; COMPUTE_PGM_RSRC2:TGID_X_EN: 1
; COMPUTE_PGM_RSRC2:TGID_Y_EN: 0
; COMPUTE_PGM_RSRC2:TGID_Z_EN: 1
; COMPUTE_PGM_RSRC2:TIDIG_COMP_CNT: 0
	.section	.text._ZL19rocblas_swap_kernelIiLi256EPKPdEviT1_lT_lS3_lS4_li,"axG",@progbits,_ZL19rocblas_swap_kernelIiLi256EPKPdEviT1_lT_lS3_lS4_li,comdat
	.globl	_ZL19rocblas_swap_kernelIiLi256EPKPdEviT1_lT_lS3_lS4_li ; -- Begin function _ZL19rocblas_swap_kernelIiLi256EPKPdEviT1_lT_lS3_lS4_li
	.p2align	8
	.type	_ZL19rocblas_swap_kernelIiLi256EPKPdEviT1_lT_lS3_lS4_li,@function
_ZL19rocblas_swap_kernelIiLi256EPKPdEviT1_lT_lS3_lS4_li: ; @_ZL19rocblas_swap_kernelIiLi256EPKPdEviT1_lT_lS3_lS4_li
; %bb.0:
	s_load_b32 s4, s[0:1], 0x0
	v_lshl_or_b32 v0, s14, 8, v0
	v_mov_b32_e32 v1, 0
	s_mov_b32 s3, exec_lo
	s_waitcnt lgkmcnt(0)
	s_ashr_i32 s5, s4, 31
	s_delay_alu instid0(VALU_DEP_1) | instid1(SALU_CYCLE_1)
	v_cmpx_gt_i64_e64 s[4:5], v[0:1]
	s_cbranch_execz .LBB10_2
; %bb.1:
	s_clause 0x2
	s_load_b32 s10, s[0:1], 0x18
	s_load_b32 s11, s[0:1], 0x38
	s_load_b128 s[4:7], s[0:1], 0x28
	s_mov_b32 s2, s15
	s_mov_b32 s3, 0
	s_delay_alu instid0(SALU_CYCLE_1)
	s_lshl_b64 s[8:9], s[2:3], 3
	s_waitcnt lgkmcnt(0)
	s_ashr_i32 s12, s10, 31
	s_ashr_i32 s13, s11, 31
	s_add_u32 s2, s4, s8
	s_addc_u32 s3, s5, s9
	v_mad_u64_u32 v[1:2], null, s10, v0, 0
	s_load_b64 s[4:5], s[2:3], 0x0
	s_load_b128 s[0:3], s[0:1], 0x8
	v_mad_u64_u32 v[3:4], null, s11, v0, 0
	s_lshl_b64 s[6:7], s[6:7], 3
	s_delay_alu instid0(VALU_DEP_1) | instskip(NEXT) | instid1(VALU_DEP_1)
	v_mad_u64_u32 v[5:6], null, s12, v0, v[2:3]
	v_mad_u64_u32 v[6:7], null, s13, v0, v[4:5]
	s_waitcnt lgkmcnt(0)
	s_add_u32 s4, s4, s6
	s_addc_u32 s5, s5, s7
	s_add_u32 s0, s0, s8
	s_addc_u32 s1, s1, s9
	v_mov_b32_e32 v2, v5
	s_load_b64 s[0:1], s[0:1], 0x0
	v_mov_b32_e32 v4, v6
	s_lshl_b64 s[2:3], s[2:3], 3
	s_delay_alu instid0(VALU_DEP_2) | instskip(NEXT) | instid1(VALU_DEP_2)
	v_lshlrev_b64 v[0:1], 3, v[1:2]
	v_lshlrev_b64 v[2:3], 3, v[3:4]
	s_waitcnt lgkmcnt(0)
	s_add_u32 s0, s0, s2
	s_addc_u32 s1, s1, s3
	s_delay_alu instid0(VALU_DEP_2)
	v_add_co_u32 v0, vcc_lo, s0, v0
	v_add_co_ci_u32_e32 v1, vcc_lo, s1, v1, vcc_lo
	v_add_co_u32 v2, vcc_lo, s4, v2
	v_add_co_ci_u32_e32 v3, vcc_lo, s5, v3, vcc_lo
	global_load_b64 v[4:5], v[0:1], off
	global_load_b64 v[6:7], v[2:3], off
	s_waitcnt vmcnt(1)
	global_store_b64 v[2:3], v[4:5], off
	s_waitcnt vmcnt(0)
	global_store_b64 v[0:1], v[6:7], off
.LBB10_2:
	s_nop 0
	s_sendmsg sendmsg(MSG_DEALLOC_VGPRS)
	s_endpgm
	.section	.rodata,"a",@progbits
	.p2align	6, 0x0
	.amdhsa_kernel _ZL19rocblas_swap_kernelIiLi256EPKPdEviT1_lT_lS3_lS4_li
		.amdhsa_group_segment_fixed_size 0
		.amdhsa_private_segment_fixed_size 0
		.amdhsa_kernarg_size 76
		.amdhsa_user_sgpr_count 14
		.amdhsa_user_sgpr_dispatch_ptr 0
		.amdhsa_user_sgpr_queue_ptr 0
		.amdhsa_user_sgpr_kernarg_segment_ptr 1
		.amdhsa_user_sgpr_dispatch_id 0
		.amdhsa_user_sgpr_private_segment_size 0
		.amdhsa_wavefront_size32 1
		.amdhsa_uses_dynamic_stack 0
		.amdhsa_enable_private_segment 0
		.amdhsa_system_sgpr_workgroup_id_x 1
		.amdhsa_system_sgpr_workgroup_id_y 0
		.amdhsa_system_sgpr_workgroup_id_z 1
		.amdhsa_system_sgpr_workgroup_info 0
		.amdhsa_system_vgpr_workitem_id 0
		.amdhsa_next_free_vgpr 8
		.amdhsa_next_free_sgpr 16
		.amdhsa_reserve_vcc 1
		.amdhsa_float_round_mode_32 0
		.amdhsa_float_round_mode_16_64 0
		.amdhsa_float_denorm_mode_32 3
		.amdhsa_float_denorm_mode_16_64 3
		.amdhsa_dx10_clamp 1
		.amdhsa_ieee_mode 1
		.amdhsa_fp16_overflow 0
		.amdhsa_workgroup_processor_mode 1
		.amdhsa_memory_ordered 1
		.amdhsa_forward_progress 0
		.amdhsa_shared_vgpr_count 0
		.amdhsa_exception_fp_ieee_invalid_op 0
		.amdhsa_exception_fp_denorm_src 0
		.amdhsa_exception_fp_ieee_div_zero 0
		.amdhsa_exception_fp_ieee_overflow 0
		.amdhsa_exception_fp_ieee_underflow 0
		.amdhsa_exception_fp_ieee_inexact 0
		.amdhsa_exception_int_div_zero 0
	.end_amdhsa_kernel
	.section	.text._ZL19rocblas_swap_kernelIiLi256EPKPdEviT1_lT_lS3_lS4_li,"axG",@progbits,_ZL19rocblas_swap_kernelIiLi256EPKPdEviT1_lT_lS3_lS4_li,comdat
.Lfunc_end10:
	.size	_ZL19rocblas_swap_kernelIiLi256EPKPdEviT1_lT_lS3_lS4_li, .Lfunc_end10-_ZL19rocblas_swap_kernelIiLi256EPKPdEviT1_lT_lS3_lS4_li
                                        ; -- End function
	.section	.AMDGPU.csdata,"",@progbits
; Kernel info:
; codeLenInByte = 320
; NumSgprs: 18
; NumVgprs: 8
; ScratchSize: 0
; MemoryBound: 0
; FloatMode: 240
; IeeeMode: 1
; LDSByteSize: 0 bytes/workgroup (compile time only)
; SGPRBlocks: 2
; VGPRBlocks: 0
; NumSGPRsForWavesPerEU: 18
; NumVGPRsForWavesPerEU: 8
; Occupancy: 16
; WaveLimiterHint : 1
; COMPUTE_PGM_RSRC2:SCRATCH_EN: 0
; COMPUTE_PGM_RSRC2:USER_SGPR: 14
; COMPUTE_PGM_RSRC2:TRAP_HANDLER: 0
; COMPUTE_PGM_RSRC2:TGID_X_EN: 1
; COMPUTE_PGM_RSRC2:TGID_Y_EN: 0
; COMPUTE_PGM_RSRC2:TGID_Z_EN: 1
; COMPUTE_PGM_RSRC2:TIDIG_COMP_CNT: 0
	.section	.text._ZL22rocblas_sswap_2_kernelILi256EPKPdEviT0_llS3_lli,"axG",@progbits,_ZL22rocblas_sswap_2_kernelILi256EPKPdEviT0_llS3_lli,comdat
	.globl	_ZL22rocblas_sswap_2_kernelILi256EPKPdEviT0_llS3_lli ; -- Begin function _ZL22rocblas_sswap_2_kernelILi256EPKPdEviT0_llS3_lli
	.p2align	8
	.type	_ZL22rocblas_sswap_2_kernelILi256EPKPdEviT0_llS3_lli,@function
_ZL22rocblas_sswap_2_kernelILi256EPKPdEviT0_llS3_lli: ; @_ZL22rocblas_sswap_2_kernelILi256EPKPdEviT0_llS3_lli
; %bb.0:
	s_load_b128 s[4:7], s[0:1], 0x8
	s_mov_b32 s2, s15
	s_mov_b32 s3, 0
	v_dual_mov_b32 v3, 0 :: v_dual_lshlrev_b32 v0, 1, v0
	s_lshl_b64 s[12:13], s[2:3], 3
	s_delay_alu instid0(VALU_DEP_1) | instskip(NEXT) | instid1(VALU_DEP_1)
	v_lshl_or_b32 v2, s14, 9, v0
	v_lshlrev_b64 v[0:1], 3, v[2:3]
	s_waitcnt lgkmcnt(0)
	s_add_u32 s2, s4, s12
	s_addc_u32 s3, s5, s13
	s_lshl_b64 s[4:5], s[6:7], 3
	s_load_b64 s[2:3], s[2:3], 0x0
	s_load_b128 s[8:11], s[0:1], 0x20
	s_mov_b32 s7, exec_lo
	s_waitcnt lgkmcnt(0)
	s_add_u32 s2, s2, s4
	s_addc_u32 s3, s3, s5
	s_add_u32 s4, s8, s12
	s_addc_u32 s5, s9, s13
	s_load_b64 s[4:5], s[4:5], 0x0
	s_load_b32 s6, s[0:1], 0x0
	s_lshl_b64 s[0:1], s[10:11], 3
	s_waitcnt lgkmcnt(0)
	s_add_u32 s4, s4, s0
	s_addc_u32 s5, s5, s1
	s_add_i32 s0, s6, -1
	s_delay_alu instid0(SALU_CYCLE_1) | instskip(NEXT) | instid1(SALU_CYCLE_1)
	s_ashr_i32 s1, s0, 31
	v_cmpx_gt_i64_e64 s[0:1], v[2:3]
	s_cbranch_execz .LBB11_2
; %bb.1:
	v_add_co_u32 v4, vcc_lo, s2, v0
	v_add_co_ci_u32_e32 v5, vcc_lo, s3, v1, vcc_lo
	v_add_co_u32 v6, vcc_lo, s4, v0
	v_add_co_ci_u32_e32 v7, vcc_lo, s5, v1, vcc_lo
	global_load_b64 v[8:9], v[4:5], off
	global_load_b64 v[10:11], v[6:7], off
	s_waitcnt vmcnt(1)
	global_store_b64 v[6:7], v[8:9], off
	s_waitcnt vmcnt(0)
	global_store_b64 v[4:5], v[10:11], off
	global_load_b64 v[8:9], v[4:5], off offset:8
	global_load_b64 v[10:11], v[6:7], off offset:8
	s_waitcnt vmcnt(1)
	global_store_b64 v[6:7], v[8:9], off offset:8
	s_waitcnt vmcnt(0)
	global_store_b64 v[4:5], v[10:11], off offset:8
.LBB11_2:
	s_or_b32 exec_lo, exec_lo, s7
	v_cmp_eq_u64_e32 vcc_lo, s[0:1], v[2:3]
	s_bitcmp1_b32 s6, 0
	s_cselect_b32 s0, -1, 0
	s_delay_alu instid0(SALU_CYCLE_1) | instskip(NEXT) | instid1(SALU_CYCLE_1)
	s_and_b32 s0, s0, vcc_lo
	s_and_saveexec_b32 s1, s0
	s_cbranch_execz .LBB11_4
; %bb.3:
	v_add_co_u32 v2, vcc_lo, s2, v0
	v_add_co_ci_u32_e32 v3, vcc_lo, s3, v1, vcc_lo
	v_add_co_u32 v0, vcc_lo, s4, v0
	v_add_co_ci_u32_e32 v1, vcc_lo, s5, v1, vcc_lo
	global_load_b64 v[4:5], v[2:3], off
	global_load_b64 v[6:7], v[0:1], off
	s_waitcnt vmcnt(1)
	global_store_b64 v[0:1], v[4:5], off
	s_waitcnt vmcnt(0)
	global_store_b64 v[2:3], v[6:7], off
.LBB11_4:
	s_nop 0
	s_sendmsg sendmsg(MSG_DEALLOC_VGPRS)
	s_endpgm
	.section	.rodata,"a",@progbits
	.p2align	6, 0x0
	.amdhsa_kernel _ZL22rocblas_sswap_2_kernelILi256EPKPdEviT0_llS3_lli
		.amdhsa_group_segment_fixed_size 0
		.amdhsa_private_segment_fixed_size 0
		.amdhsa_kernarg_size 60
		.amdhsa_user_sgpr_count 14
		.amdhsa_user_sgpr_dispatch_ptr 0
		.amdhsa_user_sgpr_queue_ptr 0
		.amdhsa_user_sgpr_kernarg_segment_ptr 1
		.amdhsa_user_sgpr_dispatch_id 0
		.amdhsa_user_sgpr_private_segment_size 0
		.amdhsa_wavefront_size32 1
		.amdhsa_uses_dynamic_stack 0
		.amdhsa_enable_private_segment 0
		.amdhsa_system_sgpr_workgroup_id_x 1
		.amdhsa_system_sgpr_workgroup_id_y 0
		.amdhsa_system_sgpr_workgroup_id_z 1
		.amdhsa_system_sgpr_workgroup_info 0
		.amdhsa_system_vgpr_workitem_id 0
		.amdhsa_next_free_vgpr 12
		.amdhsa_next_free_sgpr 16
		.amdhsa_reserve_vcc 1
		.amdhsa_float_round_mode_32 0
		.amdhsa_float_round_mode_16_64 0
		.amdhsa_float_denorm_mode_32 3
		.amdhsa_float_denorm_mode_16_64 3
		.amdhsa_dx10_clamp 1
		.amdhsa_ieee_mode 1
		.amdhsa_fp16_overflow 0
		.amdhsa_workgroup_processor_mode 1
		.amdhsa_memory_ordered 1
		.amdhsa_forward_progress 0
		.amdhsa_shared_vgpr_count 0
		.amdhsa_exception_fp_ieee_invalid_op 0
		.amdhsa_exception_fp_denorm_src 0
		.amdhsa_exception_fp_ieee_div_zero 0
		.amdhsa_exception_fp_ieee_overflow 0
		.amdhsa_exception_fp_ieee_underflow 0
		.amdhsa_exception_fp_ieee_inexact 0
		.amdhsa_exception_int_div_zero 0
	.end_amdhsa_kernel
	.section	.text._ZL22rocblas_sswap_2_kernelILi256EPKPdEviT0_llS3_lli,"axG",@progbits,_ZL22rocblas_sswap_2_kernelILi256EPKPdEviT0_llS3_lli,comdat
.Lfunc_end11:
	.size	_ZL22rocblas_sswap_2_kernelILi256EPKPdEviT0_llS3_lli, .Lfunc_end11-_ZL22rocblas_sswap_2_kernelILi256EPKPdEviT0_llS3_lli
                                        ; -- End function
	.section	.AMDGPU.csdata,"",@progbits
; Kernel info:
; codeLenInByte = 372
; NumSgprs: 18
; NumVgprs: 12
; ScratchSize: 0
; MemoryBound: 0
; FloatMode: 240
; IeeeMode: 1
; LDSByteSize: 0 bytes/workgroup (compile time only)
; SGPRBlocks: 2
; VGPRBlocks: 1
; NumSGPRsForWavesPerEU: 18
; NumVGPRsForWavesPerEU: 12
; Occupancy: 16
; WaveLimiterHint : 1
; COMPUTE_PGM_RSRC2:SCRATCH_EN: 0
; COMPUTE_PGM_RSRC2:USER_SGPR: 14
; COMPUTE_PGM_RSRC2:TRAP_HANDLER: 0
; COMPUTE_PGM_RSRC2:TGID_X_EN: 1
; COMPUTE_PGM_RSRC2:TGID_Y_EN: 0
; COMPUTE_PGM_RSRC2:TGID_Z_EN: 1
; COMPUTE_PGM_RSRC2:TIDIG_COMP_CNT: 0
	.section	.text._ZL19rocblas_swap_kernelIiLi256EPKP19rocblas_complex_numIfEEviT1_lT_lS5_lS6_li,"axG",@progbits,_ZL19rocblas_swap_kernelIiLi256EPKP19rocblas_complex_numIfEEviT1_lT_lS5_lS6_li,comdat
	.globl	_ZL19rocblas_swap_kernelIiLi256EPKP19rocblas_complex_numIfEEviT1_lT_lS5_lS6_li ; -- Begin function _ZL19rocblas_swap_kernelIiLi256EPKP19rocblas_complex_numIfEEviT1_lT_lS5_lS6_li
	.p2align	8
	.type	_ZL19rocblas_swap_kernelIiLi256EPKP19rocblas_complex_numIfEEviT1_lT_lS5_lS6_li,@function
_ZL19rocblas_swap_kernelIiLi256EPKP19rocblas_complex_numIfEEviT1_lT_lS5_lS6_li: ; @_ZL19rocblas_swap_kernelIiLi256EPKP19rocblas_complex_numIfEEviT1_lT_lS5_lS6_li
; %bb.0:
	s_load_b32 s4, s[0:1], 0x0
	v_lshl_or_b32 v0, s14, 8, v0
	v_mov_b32_e32 v1, 0
	s_mov_b32 s3, exec_lo
	s_waitcnt lgkmcnt(0)
	s_ashr_i32 s5, s4, 31
	s_delay_alu instid0(VALU_DEP_1) | instid1(SALU_CYCLE_1)
	v_cmpx_gt_i64_e64 s[4:5], v[0:1]
	s_cbranch_execz .LBB12_2
; %bb.1:
	s_clause 0x2
	s_load_b32 s10, s[0:1], 0x18
	s_load_b32 s11, s[0:1], 0x38
	s_load_b128 s[4:7], s[0:1], 0x28
	s_mov_b32 s2, s15
	s_mov_b32 s3, 0
	s_delay_alu instid0(SALU_CYCLE_1)
	s_lshl_b64 s[8:9], s[2:3], 3
	s_waitcnt lgkmcnt(0)
	s_ashr_i32 s12, s10, 31
	s_ashr_i32 s13, s11, 31
	s_add_u32 s2, s4, s8
	s_addc_u32 s3, s5, s9
	v_mad_u64_u32 v[1:2], null, s10, v0, 0
	s_load_b64 s[4:5], s[2:3], 0x0
	s_load_b128 s[0:3], s[0:1], 0x8
	v_mad_u64_u32 v[3:4], null, s11, v0, 0
	s_lshl_b64 s[6:7], s[6:7], 3
	s_delay_alu instid0(VALU_DEP_1) | instskip(NEXT) | instid1(VALU_DEP_1)
	v_mad_u64_u32 v[5:6], null, s12, v0, v[2:3]
	v_mad_u64_u32 v[6:7], null, s13, v0, v[4:5]
	s_waitcnt lgkmcnt(0)
	s_add_u32 s4, s4, s6
	s_addc_u32 s5, s5, s7
	s_add_u32 s0, s0, s8
	s_addc_u32 s1, s1, s9
	v_mov_b32_e32 v2, v5
	s_load_b64 s[0:1], s[0:1], 0x0
	v_mov_b32_e32 v4, v6
	s_lshl_b64 s[2:3], s[2:3], 3
	s_delay_alu instid0(VALU_DEP_2) | instskip(NEXT) | instid1(VALU_DEP_2)
	v_lshlrev_b64 v[0:1], 3, v[1:2]
	v_lshlrev_b64 v[2:3], 3, v[3:4]
	s_waitcnt lgkmcnt(0)
	s_add_u32 s0, s0, s2
	s_addc_u32 s1, s1, s3
	s_delay_alu instid0(VALU_DEP_2)
	v_add_co_u32 v0, vcc_lo, s0, v0
	v_add_co_ci_u32_e32 v1, vcc_lo, s1, v1, vcc_lo
	v_add_co_u32 v2, vcc_lo, s4, v2
	v_add_co_ci_u32_e32 v3, vcc_lo, s5, v3, vcc_lo
	global_load_b64 v[4:5], v[0:1], off
	global_load_b64 v[6:7], v[2:3], off
	s_waitcnt vmcnt(1)
	global_store_b64 v[2:3], v[4:5], off
	s_waitcnt vmcnt(0)
	global_store_b64 v[0:1], v[6:7], off
.LBB12_2:
	s_nop 0
	s_sendmsg sendmsg(MSG_DEALLOC_VGPRS)
	s_endpgm
	.section	.rodata,"a",@progbits
	.p2align	6, 0x0
	.amdhsa_kernel _ZL19rocblas_swap_kernelIiLi256EPKP19rocblas_complex_numIfEEviT1_lT_lS5_lS6_li
		.amdhsa_group_segment_fixed_size 0
		.amdhsa_private_segment_fixed_size 0
		.amdhsa_kernarg_size 76
		.amdhsa_user_sgpr_count 14
		.amdhsa_user_sgpr_dispatch_ptr 0
		.amdhsa_user_sgpr_queue_ptr 0
		.amdhsa_user_sgpr_kernarg_segment_ptr 1
		.amdhsa_user_sgpr_dispatch_id 0
		.amdhsa_user_sgpr_private_segment_size 0
		.amdhsa_wavefront_size32 1
		.amdhsa_uses_dynamic_stack 0
		.amdhsa_enable_private_segment 0
		.amdhsa_system_sgpr_workgroup_id_x 1
		.amdhsa_system_sgpr_workgroup_id_y 0
		.amdhsa_system_sgpr_workgroup_id_z 1
		.amdhsa_system_sgpr_workgroup_info 0
		.amdhsa_system_vgpr_workitem_id 0
		.amdhsa_next_free_vgpr 8
		.amdhsa_next_free_sgpr 16
		.amdhsa_reserve_vcc 1
		.amdhsa_float_round_mode_32 0
		.amdhsa_float_round_mode_16_64 0
		.amdhsa_float_denorm_mode_32 3
		.amdhsa_float_denorm_mode_16_64 3
		.amdhsa_dx10_clamp 1
		.amdhsa_ieee_mode 1
		.amdhsa_fp16_overflow 0
		.amdhsa_workgroup_processor_mode 1
		.amdhsa_memory_ordered 1
		.amdhsa_forward_progress 0
		.amdhsa_shared_vgpr_count 0
		.amdhsa_exception_fp_ieee_invalid_op 0
		.amdhsa_exception_fp_denorm_src 0
		.amdhsa_exception_fp_ieee_div_zero 0
		.amdhsa_exception_fp_ieee_overflow 0
		.amdhsa_exception_fp_ieee_underflow 0
		.amdhsa_exception_fp_ieee_inexact 0
		.amdhsa_exception_int_div_zero 0
	.end_amdhsa_kernel
	.section	.text._ZL19rocblas_swap_kernelIiLi256EPKP19rocblas_complex_numIfEEviT1_lT_lS5_lS6_li,"axG",@progbits,_ZL19rocblas_swap_kernelIiLi256EPKP19rocblas_complex_numIfEEviT1_lT_lS5_lS6_li,comdat
.Lfunc_end12:
	.size	_ZL19rocblas_swap_kernelIiLi256EPKP19rocblas_complex_numIfEEviT1_lT_lS5_lS6_li, .Lfunc_end12-_ZL19rocblas_swap_kernelIiLi256EPKP19rocblas_complex_numIfEEviT1_lT_lS5_lS6_li
                                        ; -- End function
	.section	.AMDGPU.csdata,"",@progbits
; Kernel info:
; codeLenInByte = 320
; NumSgprs: 18
; NumVgprs: 8
; ScratchSize: 0
; MemoryBound: 0
; FloatMode: 240
; IeeeMode: 1
; LDSByteSize: 0 bytes/workgroup (compile time only)
; SGPRBlocks: 2
; VGPRBlocks: 0
; NumSGPRsForWavesPerEU: 18
; NumVGPRsForWavesPerEU: 8
; Occupancy: 16
; WaveLimiterHint : 1
; COMPUTE_PGM_RSRC2:SCRATCH_EN: 0
; COMPUTE_PGM_RSRC2:USER_SGPR: 14
; COMPUTE_PGM_RSRC2:TRAP_HANDLER: 0
; COMPUTE_PGM_RSRC2:TGID_X_EN: 1
; COMPUTE_PGM_RSRC2:TGID_Y_EN: 0
; COMPUTE_PGM_RSRC2:TGID_Z_EN: 1
; COMPUTE_PGM_RSRC2:TIDIG_COMP_CNT: 0
	.section	.text._ZL22rocblas_sswap_2_kernelILi256EPKP19rocblas_complex_numIfEEviT0_llS5_lli,"axG",@progbits,_ZL22rocblas_sswap_2_kernelILi256EPKP19rocblas_complex_numIfEEviT0_llS5_lli,comdat
	.globl	_ZL22rocblas_sswap_2_kernelILi256EPKP19rocblas_complex_numIfEEviT0_llS5_lli ; -- Begin function _ZL22rocblas_sswap_2_kernelILi256EPKP19rocblas_complex_numIfEEviT0_llS5_lli
	.p2align	8
	.type	_ZL22rocblas_sswap_2_kernelILi256EPKP19rocblas_complex_numIfEEviT0_llS5_lli,@function
_ZL22rocblas_sswap_2_kernelILi256EPKP19rocblas_complex_numIfEEviT0_llS5_lli: ; @_ZL22rocblas_sswap_2_kernelILi256EPKP19rocblas_complex_numIfEEviT0_llS5_lli
; %bb.0:
	s_load_b128 s[4:7], s[0:1], 0x8
	s_mov_b32 s2, s15
	s_mov_b32 s3, 0
	v_dual_mov_b32 v3, 0 :: v_dual_lshlrev_b32 v0, 1, v0
	s_lshl_b64 s[12:13], s[2:3], 3
	s_delay_alu instid0(VALU_DEP_1) | instskip(NEXT) | instid1(VALU_DEP_1)
	v_lshl_or_b32 v2, s14, 9, v0
	v_lshlrev_b64 v[0:1], 3, v[2:3]
	s_waitcnt lgkmcnt(0)
	s_add_u32 s2, s4, s12
	s_addc_u32 s3, s5, s13
	s_lshl_b64 s[4:5], s[6:7], 3
	s_load_b64 s[2:3], s[2:3], 0x0
	s_load_b128 s[8:11], s[0:1], 0x20
	s_mov_b32 s7, exec_lo
	s_waitcnt lgkmcnt(0)
	s_add_u32 s2, s2, s4
	s_addc_u32 s3, s3, s5
	s_add_u32 s4, s8, s12
	s_addc_u32 s5, s9, s13
	s_load_b64 s[4:5], s[4:5], 0x0
	s_load_b32 s6, s[0:1], 0x0
	s_lshl_b64 s[0:1], s[10:11], 3
	s_waitcnt lgkmcnt(0)
	s_add_u32 s4, s4, s0
	s_addc_u32 s5, s5, s1
	s_add_i32 s0, s6, -1
	s_delay_alu instid0(SALU_CYCLE_1) | instskip(NEXT) | instid1(SALU_CYCLE_1)
	s_ashr_i32 s1, s0, 31
	v_cmpx_gt_i64_e64 s[0:1], v[2:3]
	s_cbranch_execz .LBB13_2
; %bb.1:
	v_add_co_u32 v4, vcc_lo, s2, v0
	v_add_co_ci_u32_e32 v5, vcc_lo, s3, v1, vcc_lo
	v_add_co_u32 v6, vcc_lo, s4, v0
	v_add_co_ci_u32_e32 v7, vcc_lo, s5, v1, vcc_lo
	global_load_b64 v[8:9], v[4:5], off
	global_load_b64 v[10:11], v[6:7], off
	s_waitcnt vmcnt(1)
	global_store_b64 v[6:7], v[8:9], off
	s_waitcnt vmcnt(0)
	global_store_b64 v[4:5], v[10:11], off
	global_load_b64 v[8:9], v[4:5], off offset:8
	global_load_b64 v[10:11], v[6:7], off offset:8
	s_waitcnt vmcnt(1)
	global_store_b64 v[6:7], v[8:9], off offset:8
	s_waitcnt vmcnt(0)
	global_store_b64 v[4:5], v[10:11], off offset:8
.LBB13_2:
	s_or_b32 exec_lo, exec_lo, s7
	v_cmp_eq_u64_e32 vcc_lo, s[0:1], v[2:3]
	s_bitcmp1_b32 s6, 0
	s_cselect_b32 s0, -1, 0
	s_delay_alu instid0(SALU_CYCLE_1) | instskip(NEXT) | instid1(SALU_CYCLE_1)
	s_and_b32 s0, s0, vcc_lo
	s_and_saveexec_b32 s1, s0
	s_cbranch_execz .LBB13_4
; %bb.3:
	v_add_co_u32 v2, vcc_lo, s2, v0
	v_add_co_ci_u32_e32 v3, vcc_lo, s3, v1, vcc_lo
	v_add_co_u32 v0, vcc_lo, s4, v0
	v_add_co_ci_u32_e32 v1, vcc_lo, s5, v1, vcc_lo
	global_load_b64 v[4:5], v[2:3], off
	global_load_b64 v[6:7], v[0:1], off
	s_waitcnt vmcnt(1)
	global_store_b64 v[0:1], v[4:5], off
	s_waitcnt vmcnt(0)
	global_store_b64 v[2:3], v[6:7], off
.LBB13_4:
	s_nop 0
	s_sendmsg sendmsg(MSG_DEALLOC_VGPRS)
	s_endpgm
	.section	.rodata,"a",@progbits
	.p2align	6, 0x0
	.amdhsa_kernel _ZL22rocblas_sswap_2_kernelILi256EPKP19rocblas_complex_numIfEEviT0_llS5_lli
		.amdhsa_group_segment_fixed_size 0
		.amdhsa_private_segment_fixed_size 0
		.amdhsa_kernarg_size 60
		.amdhsa_user_sgpr_count 14
		.amdhsa_user_sgpr_dispatch_ptr 0
		.amdhsa_user_sgpr_queue_ptr 0
		.amdhsa_user_sgpr_kernarg_segment_ptr 1
		.amdhsa_user_sgpr_dispatch_id 0
		.amdhsa_user_sgpr_private_segment_size 0
		.amdhsa_wavefront_size32 1
		.amdhsa_uses_dynamic_stack 0
		.amdhsa_enable_private_segment 0
		.amdhsa_system_sgpr_workgroup_id_x 1
		.amdhsa_system_sgpr_workgroup_id_y 0
		.amdhsa_system_sgpr_workgroup_id_z 1
		.amdhsa_system_sgpr_workgroup_info 0
		.amdhsa_system_vgpr_workitem_id 0
		.amdhsa_next_free_vgpr 12
		.amdhsa_next_free_sgpr 16
		.amdhsa_reserve_vcc 1
		.amdhsa_float_round_mode_32 0
		.amdhsa_float_round_mode_16_64 0
		.amdhsa_float_denorm_mode_32 3
		.amdhsa_float_denorm_mode_16_64 3
		.amdhsa_dx10_clamp 1
		.amdhsa_ieee_mode 1
		.amdhsa_fp16_overflow 0
		.amdhsa_workgroup_processor_mode 1
		.amdhsa_memory_ordered 1
		.amdhsa_forward_progress 0
		.amdhsa_shared_vgpr_count 0
		.amdhsa_exception_fp_ieee_invalid_op 0
		.amdhsa_exception_fp_denorm_src 0
		.amdhsa_exception_fp_ieee_div_zero 0
		.amdhsa_exception_fp_ieee_overflow 0
		.amdhsa_exception_fp_ieee_underflow 0
		.amdhsa_exception_fp_ieee_inexact 0
		.amdhsa_exception_int_div_zero 0
	.end_amdhsa_kernel
	.section	.text._ZL22rocblas_sswap_2_kernelILi256EPKP19rocblas_complex_numIfEEviT0_llS5_lli,"axG",@progbits,_ZL22rocblas_sswap_2_kernelILi256EPKP19rocblas_complex_numIfEEviT0_llS5_lli,comdat
.Lfunc_end13:
	.size	_ZL22rocblas_sswap_2_kernelILi256EPKP19rocblas_complex_numIfEEviT0_llS5_lli, .Lfunc_end13-_ZL22rocblas_sswap_2_kernelILi256EPKP19rocblas_complex_numIfEEviT0_llS5_lli
                                        ; -- End function
	.section	.AMDGPU.csdata,"",@progbits
; Kernel info:
; codeLenInByte = 372
; NumSgprs: 18
; NumVgprs: 12
; ScratchSize: 0
; MemoryBound: 0
; FloatMode: 240
; IeeeMode: 1
; LDSByteSize: 0 bytes/workgroup (compile time only)
; SGPRBlocks: 2
; VGPRBlocks: 1
; NumSGPRsForWavesPerEU: 18
; NumVGPRsForWavesPerEU: 12
; Occupancy: 16
; WaveLimiterHint : 1
; COMPUTE_PGM_RSRC2:SCRATCH_EN: 0
; COMPUTE_PGM_RSRC2:USER_SGPR: 14
; COMPUTE_PGM_RSRC2:TRAP_HANDLER: 0
; COMPUTE_PGM_RSRC2:TGID_X_EN: 1
; COMPUTE_PGM_RSRC2:TGID_Y_EN: 0
; COMPUTE_PGM_RSRC2:TGID_Z_EN: 1
; COMPUTE_PGM_RSRC2:TIDIG_COMP_CNT: 0
	.section	.text._ZL19rocblas_swap_kernelIiLi256EPKP19rocblas_complex_numIdEEviT1_lT_lS5_lS6_li,"axG",@progbits,_ZL19rocblas_swap_kernelIiLi256EPKP19rocblas_complex_numIdEEviT1_lT_lS5_lS6_li,comdat
	.globl	_ZL19rocblas_swap_kernelIiLi256EPKP19rocblas_complex_numIdEEviT1_lT_lS5_lS6_li ; -- Begin function _ZL19rocblas_swap_kernelIiLi256EPKP19rocblas_complex_numIdEEviT1_lT_lS5_lS6_li
	.p2align	8
	.type	_ZL19rocblas_swap_kernelIiLi256EPKP19rocblas_complex_numIdEEviT1_lT_lS5_lS6_li,@function
_ZL19rocblas_swap_kernelIiLi256EPKP19rocblas_complex_numIdEEviT1_lT_lS5_lS6_li: ; @_ZL19rocblas_swap_kernelIiLi256EPKP19rocblas_complex_numIdEEviT1_lT_lS5_lS6_li
; %bb.0:
	s_load_b32 s6, s[2:3], 0x0
	v_dual_mov_b32 v2, 0 :: v_dual_and_b32 v3, 0x3ff, v0
	s_mov_b32 s5, exec_lo
	s_delay_alu instid0(VALU_DEP_1)
	v_lshl_or_b32 v1, s14, 8, v3
	s_waitcnt lgkmcnt(0)
	s_ashr_i32 s7, s6, 31
	s_delay_alu instid0(VALU_DEP_1) | instid1(SALU_CYCLE_1)
	v_cmpx_gt_i64_e64 s[6:7], v[1:2]
	s_cbranch_execz .LBB14_2
; %bb.1:
	s_clause 0x1
	s_load_b32 s12, s[2:3], 0x18
	s_load_b32 s13, s[2:3], 0x38
	s_load_b64 s[6:7], s[0:1], 0x4
	s_load_b128 s[8:11], s[2:3], 0x28
	s_mov_b32 s4, s15
	s_mov_b32 s5, 0
	v_bfe_u32 v14, v0, 10, 10
	s_lshl_b64 s[4:5], s[4:5], 3
	v_bfe_u32 v0, v0, 20, 10
	s_waitcnt lgkmcnt(0)
	s_ashr_i32 s14, s12, 31
	s_ashr_i32 s15, s13, 31
	s_lshr_b32 s6, s6, 16
	s_add_u32 s0, s8, s4
	s_addc_u32 s1, s9, s5
	v_mad_u64_u32 v[4:5], null, s12, v1, 0
	s_load_b64 s[8:9], s[0:1], 0x0
	s_load_b128 s[0:3], s[2:3], 0x8
	v_mad_u64_u32 v[6:7], null, s13, v1, 0
	s_lshl_b64 s[10:11], s[10:11], 4
	s_mul_i32 s6, s6, s7
	s_delay_alu instid0(VALU_DEP_1) | instskip(NEXT) | instid1(VALU_DEP_1)
	v_dual_mov_b32 v2, v5 :: v_dual_mov_b32 v5, v7
	v_mad_u64_u32 v[7:8], null, s15, v1, v[5:6]
	s_delay_alu instid0(VALU_DEP_2)
	v_mad_u64_u32 v[8:9], null, s14, v1, v[2:3]
	v_mul_lo_u32 v3, s6, v3
	s_waitcnt lgkmcnt(0)
	s_add_u32 s8, s8, s10
	s_addc_u32 s9, s9, s11
	s_add_u32 s0, s0, s4
	s_addc_u32 s1, s1, s5
	v_lshlrev_b64 v[1:2], 4, v[6:7]
	s_load_b64 s[0:1], s[0:1], 0x0
	v_mov_b32_e32 v5, v8
	s_lshl_b64 s[2:3], s[2:3], 4
	v_mad_u32_u24 v3, v14, s7, v3
	s_delay_alu instid0(VALU_DEP_3) | instskip(NEXT) | instid1(VALU_DEP_3)
	v_add_co_u32 v1, vcc_lo, s8, v1
	v_lshlrev_b64 v[4:5], 4, v[4:5]
	v_add_co_ci_u32_e32 v2, vcc_lo, s9, v2, vcc_lo
	s_delay_alu instid0(VALU_DEP_4)
	v_add_lshl_u32 v0, v3, v0, 4
	s_waitcnt lgkmcnt(0)
	s_add_u32 s0, s0, s2
	s_addc_u32 s1, s1, s3
	v_add_co_u32 v12, vcc_lo, s0, v4
	v_add_co_ci_u32_e32 v13, vcc_lo, s1, v5, vcc_lo
	global_load_b128 v[4:7], v[1:2], off
	global_load_b128 v[8:11], v[12:13], off
	s_waitcnt vmcnt(1)
	ds_store_2addr_b64 v0, v[4:5], v[6:7] offset1:1
	s_waitcnt vmcnt(0)
	global_store_b128 v[1:2], v[8:11], off
	global_store_b128 v[12:13], v[4:7], off
.LBB14_2:
	s_nop 0
	s_sendmsg sendmsg(MSG_DEALLOC_VGPRS)
	s_endpgm
	.section	.rodata,"a",@progbits
	.p2align	6, 0x0
	.amdhsa_kernel _ZL19rocblas_swap_kernelIiLi256EPKP19rocblas_complex_numIdEEviT1_lT_lS5_lS6_li
		.amdhsa_group_segment_fixed_size 4096
		.amdhsa_private_segment_fixed_size 0
		.amdhsa_kernarg_size 76
		.amdhsa_user_sgpr_count 14
		.amdhsa_user_sgpr_dispatch_ptr 1
		.amdhsa_user_sgpr_queue_ptr 0
		.amdhsa_user_sgpr_kernarg_segment_ptr 1
		.amdhsa_user_sgpr_dispatch_id 0
		.amdhsa_user_sgpr_private_segment_size 0
		.amdhsa_wavefront_size32 1
		.amdhsa_uses_dynamic_stack 0
		.amdhsa_enable_private_segment 0
		.amdhsa_system_sgpr_workgroup_id_x 1
		.amdhsa_system_sgpr_workgroup_id_y 0
		.amdhsa_system_sgpr_workgroup_id_z 1
		.amdhsa_system_sgpr_workgroup_info 0
		.amdhsa_system_vgpr_workitem_id 2
		.amdhsa_next_free_vgpr 15
		.amdhsa_next_free_sgpr 16
		.amdhsa_reserve_vcc 1
		.amdhsa_float_round_mode_32 0
		.amdhsa_float_round_mode_16_64 0
		.amdhsa_float_denorm_mode_32 3
		.amdhsa_float_denorm_mode_16_64 3
		.amdhsa_dx10_clamp 1
		.amdhsa_ieee_mode 1
		.amdhsa_fp16_overflow 0
		.amdhsa_workgroup_processor_mode 1
		.amdhsa_memory_ordered 1
		.amdhsa_forward_progress 0
		.amdhsa_shared_vgpr_count 0
		.amdhsa_exception_fp_ieee_invalid_op 0
		.amdhsa_exception_fp_denorm_src 0
		.amdhsa_exception_fp_ieee_div_zero 0
		.amdhsa_exception_fp_ieee_overflow 0
		.amdhsa_exception_fp_ieee_underflow 0
		.amdhsa_exception_fp_ieee_inexact 0
		.amdhsa_exception_int_div_zero 0
	.end_amdhsa_kernel
	.section	.text._ZL19rocblas_swap_kernelIiLi256EPKP19rocblas_complex_numIdEEviT1_lT_lS5_lS6_li,"axG",@progbits,_ZL19rocblas_swap_kernelIiLi256EPKP19rocblas_complex_numIdEEviT1_lT_lS5_lS6_li,comdat
.Lfunc_end14:
	.size	_ZL19rocblas_swap_kernelIiLi256EPKP19rocblas_complex_numIdEEviT1_lT_lS5_lS6_li, .Lfunc_end14-_ZL19rocblas_swap_kernelIiLi256EPKP19rocblas_complex_numIdEEviT1_lT_lS5_lS6_li
                                        ; -- End function
	.section	.AMDGPU.csdata,"",@progbits
; Kernel info:
; codeLenInByte = 400
; NumSgprs: 18
; NumVgprs: 15
; ScratchSize: 0
; MemoryBound: 0
; FloatMode: 240
; IeeeMode: 1
; LDSByteSize: 4096 bytes/workgroup (compile time only)
; SGPRBlocks: 2
; VGPRBlocks: 1
; NumSGPRsForWavesPerEU: 18
; NumVGPRsForWavesPerEU: 15
; Occupancy: 16
; WaveLimiterHint : 1
; COMPUTE_PGM_RSRC2:SCRATCH_EN: 0
; COMPUTE_PGM_RSRC2:USER_SGPR: 14
; COMPUTE_PGM_RSRC2:TRAP_HANDLER: 0
; COMPUTE_PGM_RSRC2:TGID_X_EN: 1
; COMPUTE_PGM_RSRC2:TGID_Y_EN: 0
; COMPUTE_PGM_RSRC2:TGID_Z_EN: 1
; COMPUTE_PGM_RSRC2:TIDIG_COMP_CNT: 2
	.section	.text._ZL22rocblas_sswap_2_kernelILi256EPKP19rocblas_complex_numIdEEviT0_llS5_lli,"axG",@progbits,_ZL22rocblas_sswap_2_kernelILi256EPKP19rocblas_complex_numIdEEviT0_llS5_lli,comdat
	.globl	_ZL22rocblas_sswap_2_kernelILi256EPKP19rocblas_complex_numIdEEviT0_llS5_lli ; -- Begin function _ZL22rocblas_sswap_2_kernelILi256EPKP19rocblas_complex_numIdEEviT0_llS5_lli
	.p2align	8
	.type	_ZL22rocblas_sswap_2_kernelILi256EPKP19rocblas_complex_numIdEEviT0_llS5_lli,@function
_ZL22rocblas_sswap_2_kernelILi256EPKP19rocblas_complex_numIdEEviT0_llS5_lli: ; @_ZL22rocblas_sswap_2_kernelILi256EPKP19rocblas_complex_numIdEEviT0_llS5_lli
; %bb.0:
	s_load_b64 s[0:1], s[0:1], 0x4
	s_load_b128 s[4:7], s[2:3], 0x8
	s_mov_b32 s8, s15
	s_mov_b32 s9, 0
	v_and_b32_e32 v1, 0x3ff, v0
	s_lshl_b64 s[12:13], s[8:9], 3
	v_bfe_u32 v4, v0, 10, 10
	v_mov_b32_e32 v3, 0
	v_bfe_u32 v5, v0, 20, 10
	v_lshlrev_b32_e32 v2, 1, v1
	s_delay_alu instid0(VALU_DEP_1)
	v_lshl_or_b32 v2, s14, 9, v2
	s_waitcnt lgkmcnt(0)
	s_lshr_b32 s0, s0, 16
	s_add_u32 s4, s4, s12
	s_addc_u32 s5, s5, s13
	s_lshl_b64 s[6:7], s[6:7], 4
	s_load_b64 s[4:5], s[4:5], 0x0
	s_load_b128 s[8:11], s[2:3], 0x20
	s_mul_i32 s0, s0, s1
	v_mul_u32_u24_e32 v4, s1, v4
	v_mul_lo_u32 v6, s0, v1
	v_lshlrev_b64 v[0:1], 4, v[2:3]
	s_delay_alu instid0(VALU_DEP_2)
	v_add3_u32 v4, v6, v4, v5
	s_waitcnt lgkmcnt(0)
	s_add_u32 s4, s4, s6
	s_addc_u32 s5, s5, s7
	s_add_u32 s6, s8, s12
	s_addc_u32 s7, s9, s13
	s_load_b64 s[8:9], s[6:7], 0x0
	s_load_b32 s6, s[2:3], 0x0
	s_lshl_b64 s[2:3], s[10:11], 4
	s_mov_b32 s7, exec_lo
	s_waitcnt lgkmcnt(0)
	s_add_u32 s2, s8, s2
	s_addc_u32 s3, s9, s3
	s_add_i32 s0, s6, -1
	s_delay_alu instid0(SALU_CYCLE_1) | instskip(NEXT) | instid1(SALU_CYCLE_1)
	s_ashr_i32 s1, s0, 31
	v_cmpx_gt_i64_e64 s[0:1], v[2:3]
	s_cbranch_execz .LBB15_2
; %bb.1:
	v_add_co_u32 v13, vcc_lo, s4, v0
	v_add_co_ci_u32_e32 v14, vcc_lo, s5, v1, vcc_lo
	v_add_co_u32 v15, vcc_lo, s2, v0
	v_add_co_ci_u32_e32 v16, vcc_lo, s3, v1, vcc_lo
	v_lshlrev_b32_e32 v17, 4, v4
	global_load_b128 v[5:8], v[13:14], off
	global_load_b128 v[9:12], v[15:16], off
	s_waitcnt vmcnt(1)
	global_store_b128 v[15:16], v[5:8], off
	s_waitcnt vmcnt(0)
	global_store_b128 v[13:14], v[9:12], off
	global_load_b128 v[5:8], v[15:16], off offset:16
	global_load_b128 v[9:12], v[13:14], off offset:16
	s_waitcnt vmcnt(1)
	ds_store_2addr_b64 v17, v[5:6], v[7:8] offset1:1
	s_waitcnt vmcnt(0)
	global_store_b128 v[15:16], v[9:12], off offset:16
	global_store_b128 v[13:14], v[5:8], off offset:16
.LBB15_2:
	s_or_b32 exec_lo, exec_lo, s7
	v_cmp_eq_u64_e32 vcc_lo, s[0:1], v[2:3]
	s_bitcmp1_b32 s6, 0
	s_cselect_b32 s0, -1, 0
	s_delay_alu instid0(SALU_CYCLE_1) | instskip(NEXT) | instid1(SALU_CYCLE_1)
	s_and_b32 s0, s0, vcc_lo
	s_and_saveexec_b32 s1, s0
	s_cbranch_execz .LBB15_4
; %bb.3:
	v_add_co_u32 v9, vcc_lo, s2, v0
	v_add_co_ci_u32_e32 v10, vcc_lo, s3, v1, vcc_lo
	v_add_co_u32 v11, vcc_lo, s4, v0
	v_add_co_ci_u32_e32 v12, vcc_lo, s5, v1, vcc_lo
	v_lshl_add_u32 v4, v4, 4, 0x1000
	global_load_b128 v[0:3], v[9:10], off
	global_load_b128 v[5:8], v[11:12], off
	s_waitcnt vmcnt(1)
	ds_store_2addr_b64 v4, v[0:1], v[2:3] offset1:1
	s_waitcnt vmcnt(0)
	global_store_b128 v[9:10], v[5:8], off
	global_store_b128 v[11:12], v[0:3], off
.LBB15_4:
	s_nop 0
	s_sendmsg sendmsg(MSG_DEALLOC_VGPRS)
	s_endpgm
	.section	.rodata,"a",@progbits
	.p2align	6, 0x0
	.amdhsa_kernel _ZL22rocblas_sswap_2_kernelILi256EPKP19rocblas_complex_numIdEEviT0_llS5_lli
		.amdhsa_group_segment_fixed_size 8192
		.amdhsa_private_segment_fixed_size 0
		.amdhsa_kernarg_size 60
		.amdhsa_user_sgpr_count 14
		.amdhsa_user_sgpr_dispatch_ptr 1
		.amdhsa_user_sgpr_queue_ptr 0
		.amdhsa_user_sgpr_kernarg_segment_ptr 1
		.amdhsa_user_sgpr_dispatch_id 0
		.amdhsa_user_sgpr_private_segment_size 0
		.amdhsa_wavefront_size32 1
		.amdhsa_uses_dynamic_stack 0
		.amdhsa_enable_private_segment 0
		.amdhsa_system_sgpr_workgroup_id_x 1
		.amdhsa_system_sgpr_workgroup_id_y 0
		.amdhsa_system_sgpr_workgroup_id_z 1
		.amdhsa_system_sgpr_workgroup_info 0
		.amdhsa_system_vgpr_workitem_id 2
		.amdhsa_next_free_vgpr 18
		.amdhsa_next_free_sgpr 16
		.amdhsa_reserve_vcc 1
		.amdhsa_float_round_mode_32 0
		.amdhsa_float_round_mode_16_64 0
		.amdhsa_float_denorm_mode_32 3
		.amdhsa_float_denorm_mode_16_64 3
		.amdhsa_dx10_clamp 1
		.amdhsa_ieee_mode 1
		.amdhsa_fp16_overflow 0
		.amdhsa_workgroup_processor_mode 1
		.amdhsa_memory_ordered 1
		.amdhsa_forward_progress 0
		.amdhsa_shared_vgpr_count 0
		.amdhsa_exception_fp_ieee_invalid_op 0
		.amdhsa_exception_fp_denorm_src 0
		.amdhsa_exception_fp_ieee_div_zero 0
		.amdhsa_exception_fp_ieee_overflow 0
		.amdhsa_exception_fp_ieee_underflow 0
		.amdhsa_exception_fp_ieee_inexact 0
		.amdhsa_exception_int_div_zero 0
	.end_amdhsa_kernel
	.section	.text._ZL22rocblas_sswap_2_kernelILi256EPKP19rocblas_complex_numIdEEviT0_llS5_lli,"axG",@progbits,_ZL22rocblas_sswap_2_kernelILi256EPKP19rocblas_complex_numIdEEviT0_llS5_lli,comdat
.Lfunc_end15:
	.size	_ZL22rocblas_sswap_2_kernelILi256EPKP19rocblas_complex_numIdEEviT0_llS5_lli, .Lfunc_end15-_ZL22rocblas_sswap_2_kernelILi256EPKP19rocblas_complex_numIdEEviT0_llS5_lli
                                        ; -- End function
	.section	.AMDGPU.csdata,"",@progbits
; Kernel info:
; codeLenInByte = 468
; NumSgprs: 18
; NumVgprs: 18
; ScratchSize: 0
; MemoryBound: 0
; FloatMode: 240
; IeeeMode: 1
; LDSByteSize: 8192 bytes/workgroup (compile time only)
; SGPRBlocks: 2
; VGPRBlocks: 2
; NumSGPRsForWavesPerEU: 18
; NumVGPRsForWavesPerEU: 18
; Occupancy: 16
; WaveLimiterHint : 1
; COMPUTE_PGM_RSRC2:SCRATCH_EN: 0
; COMPUTE_PGM_RSRC2:USER_SGPR: 14
; COMPUTE_PGM_RSRC2:TRAP_HANDLER: 0
; COMPUTE_PGM_RSRC2:TGID_X_EN: 1
; COMPUTE_PGM_RSRC2:TGID_Y_EN: 0
; COMPUTE_PGM_RSRC2:TGID_Z_EN: 1
; COMPUTE_PGM_RSRC2:TIDIG_COMP_CNT: 2
	.text
	.p2alignl 7, 3214868480
	.fill 96, 4, 3214868480
	.type	__hip_cuid_82e1d49542bc1e78,@object ; @__hip_cuid_82e1d49542bc1e78
	.section	.bss,"aw",@nobits
	.globl	__hip_cuid_82e1d49542bc1e78
__hip_cuid_82e1d49542bc1e78:
	.byte	0                               ; 0x0
	.size	__hip_cuid_82e1d49542bc1e78, 1

	.ident	"AMD clang version 19.0.0git (https://github.com/RadeonOpenCompute/llvm-project roc-6.4.0 25133 c7fe45cf4b819c5991fe208aaa96edf142730f1d)"
	.section	".note.GNU-stack","",@progbits
	.addrsig
	.addrsig_sym __hip_cuid_82e1d49542bc1e78
	.amdgpu_metadata
---
amdhsa.kernels:
  - .args:
      - .offset:         0
        .size:           4
        .value_kind:     by_value
      - .address_space:  global
        .offset:         8
        .size:           8
        .value_kind:     global_buffer
      - .offset:         16
        .size:           8
        .value_kind:     by_value
      - .offset:         24
        .size:           4
        .value_kind:     by_value
      - .offset:         32
        .size:           8
        .value_kind:     by_value
      - .address_space:  global
        .offset:         40
        .size:           8
        .value_kind:     global_buffer
      - .offset:         48
        .size:           8
        .value_kind:     by_value
      - .offset:         56
        .size:           4
        .value_kind:     by_value
      - .offset:         64
        .size:           8
        .value_kind:     by_value
      - .offset:         72
        .size:           4
        .value_kind:     by_value
    .group_segment_fixed_size: 0
    .kernarg_segment_align: 8
    .kernarg_segment_size: 76
    .language:       OpenCL C
    .language_version:
      - 2
      - 0
    .max_flat_workgroup_size: 256
    .name:           _ZL19rocblas_swap_kernelIiLi256EPfEviT1_lT_lS1_lS2_li
    .private_segment_fixed_size: 0
    .sgpr_count:     20
    .sgpr_spill_count: 0
    .symbol:         _ZL19rocblas_swap_kernelIiLi256EPfEviT1_lT_lS1_lS2_li.kd
    .uniform_work_group_size: 1
    .uses_dynamic_stack: false
    .vgpr_count:     8
    .vgpr_spill_count: 0
    .wavefront_size: 32
    .workgroup_processor_mode: 1
  - .args:
      - .offset:         0
        .size:           4
        .value_kind:     by_value
      - .address_space:  global
        .offset:         8
        .size:           8
        .value_kind:     global_buffer
      - .offset:         16
        .size:           8
        .value_kind:     by_value
      - .offset:         24
        .size:           8
        .value_kind:     by_value
      - .address_space:  global
        .offset:         32
        .size:           8
        .value_kind:     global_buffer
      - .offset:         40
        .size:           8
        .value_kind:     by_value
      - .offset:         48
        .size:           8
        .value_kind:     by_value
      - .offset:         56
        .size:           4
        .value_kind:     by_value
    .group_segment_fixed_size: 0
    .kernarg_segment_align: 8
    .kernarg_segment_size: 60
    .language:       OpenCL C
    .language_version:
      - 2
      - 0
    .max_flat_workgroup_size: 256
    .name:           _ZL22rocblas_sswap_2_kernelILi256EPfEviT0_llS1_lli
    .private_segment_fixed_size: 0
    .sgpr_count:     20
    .sgpr_spill_count: 0
    .symbol:         _ZL22rocblas_sswap_2_kernelILi256EPfEviT0_llS1_lli.kd
    .uniform_work_group_size: 1
    .uses_dynamic_stack: false
    .vgpr_count:     12
    .vgpr_spill_count: 0
    .wavefront_size: 32
    .workgroup_processor_mode: 1
  - .args:
      - .offset:         0
        .size:           4
        .value_kind:     by_value
      - .address_space:  global
        .offset:         8
        .size:           8
        .value_kind:     global_buffer
      - .offset:         16
        .size:           8
        .value_kind:     by_value
      - .offset:         24
        .size:           4
        .value_kind:     by_value
      - .offset:         32
        .size:           8
        .value_kind:     by_value
      - .address_space:  global
        .offset:         40
        .size:           8
        .value_kind:     global_buffer
      - .offset:         48
        .size:           8
        .value_kind:     by_value
      - .offset:         56
        .size:           4
        .value_kind:     by_value
      - .offset:         64
        .size:           8
        .value_kind:     by_value
      - .offset:         72
        .size:           4
        .value_kind:     by_value
    .group_segment_fixed_size: 0
    .kernarg_segment_align: 8
    .kernarg_segment_size: 76
    .language:       OpenCL C
    .language_version:
      - 2
      - 0
    .max_flat_workgroup_size: 256
    .name:           _ZL19rocblas_swap_kernelIiLi256EPdEviT1_lT_lS1_lS2_li
    .private_segment_fixed_size: 0
    .sgpr_count:     20
    .sgpr_spill_count: 0
    .symbol:         _ZL19rocblas_swap_kernelIiLi256EPdEviT1_lT_lS1_lS2_li.kd
    .uniform_work_group_size: 1
    .uses_dynamic_stack: false
    .vgpr_count:     8
    .vgpr_spill_count: 0
    .wavefront_size: 32
    .workgroup_processor_mode: 1
  - .args:
      - .offset:         0
        .size:           4
        .value_kind:     by_value
      - .address_space:  global
        .offset:         8
        .size:           8
        .value_kind:     global_buffer
      - .offset:         16
        .size:           8
        .value_kind:     by_value
      - .offset:         24
        .size:           8
        .value_kind:     by_value
      - .address_space:  global
        .offset:         32
        .size:           8
        .value_kind:     global_buffer
      - .offset:         40
        .size:           8
        .value_kind:     by_value
      - .offset:         48
        .size:           8
        .value_kind:     by_value
      - .offset:         56
        .size:           4
        .value_kind:     by_value
    .group_segment_fixed_size: 0
    .kernarg_segment_align: 8
    .kernarg_segment_size: 60
    .language:       OpenCL C
    .language_version:
      - 2
      - 0
    .max_flat_workgroup_size: 256
    .name:           _ZL22rocblas_sswap_2_kernelILi256EPdEviT0_llS1_lli
    .private_segment_fixed_size: 0
    .sgpr_count:     20
    .sgpr_spill_count: 0
    .symbol:         _ZL22rocblas_sswap_2_kernelILi256EPdEviT0_llS1_lli.kd
    .uniform_work_group_size: 1
    .uses_dynamic_stack: false
    .vgpr_count:     16
    .vgpr_spill_count: 0
    .wavefront_size: 32
    .workgroup_processor_mode: 1
  - .args:
      - .offset:         0
        .size:           4
        .value_kind:     by_value
      - .address_space:  global
        .offset:         8
        .size:           8
        .value_kind:     global_buffer
      - .offset:         16
        .size:           8
        .value_kind:     by_value
      - .offset:         24
        .size:           4
        .value_kind:     by_value
      - .offset:         32
        .size:           8
        .value_kind:     by_value
      - .address_space:  global
        .offset:         40
        .size:           8
        .value_kind:     global_buffer
      - .offset:         48
        .size:           8
        .value_kind:     by_value
      - .offset:         56
        .size:           4
        .value_kind:     by_value
      - .offset:         64
        .size:           8
        .value_kind:     by_value
      - .offset:         72
        .size:           4
        .value_kind:     by_value
    .group_segment_fixed_size: 0
    .kernarg_segment_align: 8
    .kernarg_segment_size: 76
    .language:       OpenCL C
    .language_version:
      - 2
      - 0
    .max_flat_workgroup_size: 256
    .name:           _ZL19rocblas_swap_kernelIiLi256EP19rocblas_complex_numIfEEviT1_lT_lS3_lS4_li
    .private_segment_fixed_size: 0
    .sgpr_count:     20
    .sgpr_spill_count: 0
    .symbol:         _ZL19rocblas_swap_kernelIiLi256EP19rocblas_complex_numIfEEviT1_lT_lS3_lS4_li.kd
    .uniform_work_group_size: 1
    .uses_dynamic_stack: false
    .vgpr_count:     8
    .vgpr_spill_count: 0
    .wavefront_size: 32
    .workgroup_processor_mode: 1
  - .args:
      - .offset:         0
        .size:           4
        .value_kind:     by_value
      - .address_space:  global
        .offset:         8
        .size:           8
        .value_kind:     global_buffer
      - .offset:         16
        .size:           8
        .value_kind:     by_value
      - .offset:         24
        .size:           8
        .value_kind:     by_value
      - .address_space:  global
        .offset:         32
        .size:           8
        .value_kind:     global_buffer
      - .offset:         40
        .size:           8
        .value_kind:     by_value
      - .offset:         48
        .size:           8
        .value_kind:     by_value
      - .offset:         56
        .size:           4
        .value_kind:     by_value
    .group_segment_fixed_size: 0
    .kernarg_segment_align: 8
    .kernarg_segment_size: 60
    .language:       OpenCL C
    .language_version:
      - 2
      - 0
    .max_flat_workgroup_size: 256
    .name:           _ZL22rocblas_sswap_2_kernelILi256EP19rocblas_complex_numIfEEviT0_llS3_lli
    .private_segment_fixed_size: 0
    .sgpr_count:     20
    .sgpr_spill_count: 0
    .symbol:         _ZL22rocblas_sswap_2_kernelILi256EP19rocblas_complex_numIfEEviT0_llS3_lli.kd
    .uniform_work_group_size: 1
    .uses_dynamic_stack: false
    .vgpr_count:     16
    .vgpr_spill_count: 0
    .wavefront_size: 32
    .workgroup_processor_mode: 1
  - .args:
      - .offset:         0
        .size:           4
        .value_kind:     by_value
      - .address_space:  global
        .offset:         8
        .size:           8
        .value_kind:     global_buffer
      - .offset:         16
        .size:           8
        .value_kind:     by_value
      - .offset:         24
        .size:           4
        .value_kind:     by_value
      - .offset:         32
        .size:           8
        .value_kind:     by_value
      - .address_space:  global
        .offset:         40
        .size:           8
        .value_kind:     global_buffer
      - .offset:         48
        .size:           8
        .value_kind:     by_value
      - .offset:         56
        .size:           4
        .value_kind:     by_value
      - .offset:         64
        .size:           8
        .value_kind:     by_value
      - .offset:         72
        .size:           4
        .value_kind:     by_value
    .group_segment_fixed_size: 4096
    .kernarg_segment_align: 8
    .kernarg_segment_size: 76
    .language:       OpenCL C
    .language_version:
      - 2
      - 0
    .max_flat_workgroup_size: 256
    .name:           _ZL19rocblas_swap_kernelIiLi256EP19rocblas_complex_numIdEEviT1_lT_lS3_lS4_li
    .private_segment_fixed_size: 0
    .sgpr_count:     22
    .sgpr_spill_count: 0
    .symbol:         _ZL19rocblas_swap_kernelIiLi256EP19rocblas_complex_numIdEEviT1_lT_lS3_lS4_li.kd
    .uniform_work_group_size: 1
    .uses_dynamic_stack: false
    .vgpr_count:     15
    .vgpr_spill_count: 0
    .wavefront_size: 32
    .workgroup_processor_mode: 1
  - .args:
      - .offset:         0
        .size:           4
        .value_kind:     by_value
      - .address_space:  global
        .offset:         8
        .size:           8
        .value_kind:     global_buffer
      - .offset:         16
        .size:           8
        .value_kind:     by_value
      - .offset:         24
        .size:           8
        .value_kind:     by_value
      - .address_space:  global
        .offset:         32
        .size:           8
        .value_kind:     global_buffer
      - .offset:         40
        .size:           8
        .value_kind:     by_value
      - .offset:         48
        .size:           8
        .value_kind:     by_value
      - .offset:         56
        .size:           4
        .value_kind:     by_value
    .group_segment_fixed_size: 8192
    .kernarg_segment_align: 8
    .kernarg_segment_size: 60
    .language:       OpenCL C
    .language_version:
      - 2
      - 0
    .max_flat_workgroup_size: 256
    .name:           _ZL22rocblas_sswap_2_kernelILi256EP19rocblas_complex_numIdEEviT0_llS3_lli
    .private_segment_fixed_size: 0
    .sgpr_count:     22
    .sgpr_spill_count: 0
    .symbol:         _ZL22rocblas_sswap_2_kernelILi256EP19rocblas_complex_numIdEEviT0_llS3_lli.kd
    .uniform_work_group_size: 1
    .uses_dynamic_stack: false
    .vgpr_count:     26
    .vgpr_spill_count: 0
    .wavefront_size: 32
    .workgroup_processor_mode: 1
  - .args:
      - .offset:         0
        .size:           4
        .value_kind:     by_value
      - .address_space:  global
        .offset:         8
        .size:           8
        .value_kind:     global_buffer
      - .offset:         16
        .size:           8
        .value_kind:     by_value
      - .offset:         24
        .size:           4
        .value_kind:     by_value
      - .offset:         32
        .size:           8
        .value_kind:     by_value
      - .address_space:  global
        .offset:         40
        .size:           8
        .value_kind:     global_buffer
      - .offset:         48
        .size:           8
        .value_kind:     by_value
      - .offset:         56
        .size:           4
        .value_kind:     by_value
      - .offset:         64
        .size:           8
        .value_kind:     by_value
      - .offset:         72
        .size:           4
        .value_kind:     by_value
    .group_segment_fixed_size: 0
    .kernarg_segment_align: 8
    .kernarg_segment_size: 76
    .language:       OpenCL C
    .language_version:
      - 2
      - 0
    .max_flat_workgroup_size: 256
    .name:           _ZL19rocblas_swap_kernelIiLi256EPKPfEviT1_lT_lS3_lS4_li
    .private_segment_fixed_size: 0
    .sgpr_count:     18
    .sgpr_spill_count: 0
    .symbol:         _ZL19rocblas_swap_kernelIiLi256EPKPfEviT1_lT_lS3_lS4_li.kd
    .uniform_work_group_size: 1
    .uses_dynamic_stack: false
    .vgpr_count:     8
    .vgpr_spill_count: 0
    .wavefront_size: 32
    .workgroup_processor_mode: 1
  - .args:
      - .offset:         0
        .size:           4
        .value_kind:     by_value
      - .actual_access:  read_only
        .address_space:  global
        .offset:         8
        .size:           8
        .value_kind:     global_buffer
      - .offset:         16
        .size:           8
        .value_kind:     by_value
      - .offset:         24
        .size:           8
        .value_kind:     by_value
      - .actual_access:  read_only
        .address_space:  global
        .offset:         32
        .size:           8
        .value_kind:     global_buffer
      - .offset:         40
        .size:           8
        .value_kind:     by_value
      - .offset:         48
        .size:           8
        .value_kind:     by_value
      - .offset:         56
        .size:           4
        .value_kind:     by_value
    .group_segment_fixed_size: 0
    .kernarg_segment_align: 8
    .kernarg_segment_size: 60
    .language:       OpenCL C
    .language_version:
      - 2
      - 0
    .max_flat_workgroup_size: 256
    .name:           _ZL22rocblas_sswap_2_kernelILi256EPKPfEviT0_llS3_lli
    .private_segment_fixed_size: 0
    .sgpr_count:     18
    .sgpr_spill_count: 0
    .symbol:         _ZL22rocblas_sswap_2_kernelILi256EPKPfEviT0_llS3_lli.kd
    .uniform_work_group_size: 1
    .uses_dynamic_stack: false
    .vgpr_count:     10
    .vgpr_spill_count: 0
    .wavefront_size: 32
    .workgroup_processor_mode: 1
  - .args:
      - .offset:         0
        .size:           4
        .value_kind:     by_value
      - .address_space:  global
        .offset:         8
        .size:           8
        .value_kind:     global_buffer
      - .offset:         16
        .size:           8
        .value_kind:     by_value
      - .offset:         24
        .size:           4
        .value_kind:     by_value
      - .offset:         32
        .size:           8
        .value_kind:     by_value
      - .address_space:  global
        .offset:         40
        .size:           8
        .value_kind:     global_buffer
      - .offset:         48
        .size:           8
        .value_kind:     by_value
      - .offset:         56
        .size:           4
        .value_kind:     by_value
      - .offset:         64
        .size:           8
        .value_kind:     by_value
      - .offset:         72
        .size:           4
        .value_kind:     by_value
    .group_segment_fixed_size: 0
    .kernarg_segment_align: 8
    .kernarg_segment_size: 76
    .language:       OpenCL C
    .language_version:
      - 2
      - 0
    .max_flat_workgroup_size: 256
    .name:           _ZL19rocblas_swap_kernelIiLi256EPKPdEviT1_lT_lS3_lS4_li
    .private_segment_fixed_size: 0
    .sgpr_count:     18
    .sgpr_spill_count: 0
    .symbol:         _ZL19rocblas_swap_kernelIiLi256EPKPdEviT1_lT_lS3_lS4_li.kd
    .uniform_work_group_size: 1
    .uses_dynamic_stack: false
    .vgpr_count:     8
    .vgpr_spill_count: 0
    .wavefront_size: 32
    .workgroup_processor_mode: 1
  - .args:
      - .offset:         0
        .size:           4
        .value_kind:     by_value
      - .actual_access:  read_only
        .address_space:  global
        .offset:         8
        .size:           8
        .value_kind:     global_buffer
      - .offset:         16
        .size:           8
        .value_kind:     by_value
      - .offset:         24
        .size:           8
        .value_kind:     by_value
      - .actual_access:  read_only
        .address_space:  global
        .offset:         32
        .size:           8
        .value_kind:     global_buffer
      - .offset:         40
        .size:           8
        .value_kind:     by_value
      - .offset:         48
        .size:           8
        .value_kind:     by_value
      - .offset:         56
        .size:           4
        .value_kind:     by_value
    .group_segment_fixed_size: 0
    .kernarg_segment_align: 8
    .kernarg_segment_size: 60
    .language:       OpenCL C
    .language_version:
      - 2
      - 0
    .max_flat_workgroup_size: 256
    .name:           _ZL22rocblas_sswap_2_kernelILi256EPKPdEviT0_llS3_lli
    .private_segment_fixed_size: 0
    .sgpr_count:     18
    .sgpr_spill_count: 0
    .symbol:         _ZL22rocblas_sswap_2_kernelILi256EPKPdEviT0_llS3_lli.kd
    .uniform_work_group_size: 1
    .uses_dynamic_stack: false
    .vgpr_count:     12
    .vgpr_spill_count: 0
    .wavefront_size: 32
    .workgroup_processor_mode: 1
  - .args:
      - .offset:         0
        .size:           4
        .value_kind:     by_value
      - .address_space:  global
        .offset:         8
        .size:           8
        .value_kind:     global_buffer
      - .offset:         16
        .size:           8
        .value_kind:     by_value
      - .offset:         24
        .size:           4
        .value_kind:     by_value
      - .offset:         32
        .size:           8
        .value_kind:     by_value
      - .address_space:  global
        .offset:         40
        .size:           8
        .value_kind:     global_buffer
      - .offset:         48
        .size:           8
        .value_kind:     by_value
      - .offset:         56
        .size:           4
        .value_kind:     by_value
      - .offset:         64
        .size:           8
        .value_kind:     by_value
      - .offset:         72
        .size:           4
        .value_kind:     by_value
    .group_segment_fixed_size: 0
    .kernarg_segment_align: 8
    .kernarg_segment_size: 76
    .language:       OpenCL C
    .language_version:
      - 2
      - 0
    .max_flat_workgroup_size: 256
    .name:           _ZL19rocblas_swap_kernelIiLi256EPKP19rocblas_complex_numIfEEviT1_lT_lS5_lS6_li
    .private_segment_fixed_size: 0
    .sgpr_count:     18
    .sgpr_spill_count: 0
    .symbol:         _ZL19rocblas_swap_kernelIiLi256EPKP19rocblas_complex_numIfEEviT1_lT_lS5_lS6_li.kd
    .uniform_work_group_size: 1
    .uses_dynamic_stack: false
    .vgpr_count:     8
    .vgpr_spill_count: 0
    .wavefront_size: 32
    .workgroup_processor_mode: 1
  - .args:
      - .offset:         0
        .size:           4
        .value_kind:     by_value
      - .actual_access:  read_only
        .address_space:  global
        .offset:         8
        .size:           8
        .value_kind:     global_buffer
      - .offset:         16
        .size:           8
        .value_kind:     by_value
      - .offset:         24
        .size:           8
        .value_kind:     by_value
      - .actual_access:  read_only
        .address_space:  global
        .offset:         32
        .size:           8
        .value_kind:     global_buffer
      - .offset:         40
        .size:           8
        .value_kind:     by_value
      - .offset:         48
        .size:           8
        .value_kind:     by_value
      - .offset:         56
        .size:           4
        .value_kind:     by_value
    .group_segment_fixed_size: 0
    .kernarg_segment_align: 8
    .kernarg_segment_size: 60
    .language:       OpenCL C
    .language_version:
      - 2
      - 0
    .max_flat_workgroup_size: 256
    .name:           _ZL22rocblas_sswap_2_kernelILi256EPKP19rocblas_complex_numIfEEviT0_llS5_lli
    .private_segment_fixed_size: 0
    .sgpr_count:     18
    .sgpr_spill_count: 0
    .symbol:         _ZL22rocblas_sswap_2_kernelILi256EPKP19rocblas_complex_numIfEEviT0_llS5_lli.kd
    .uniform_work_group_size: 1
    .uses_dynamic_stack: false
    .vgpr_count:     12
    .vgpr_spill_count: 0
    .wavefront_size: 32
    .workgroup_processor_mode: 1
  - .args:
      - .offset:         0
        .size:           4
        .value_kind:     by_value
      - .address_space:  global
        .offset:         8
        .size:           8
        .value_kind:     global_buffer
      - .offset:         16
        .size:           8
        .value_kind:     by_value
      - .offset:         24
        .size:           4
        .value_kind:     by_value
      - .offset:         32
        .size:           8
        .value_kind:     by_value
      - .address_space:  global
        .offset:         40
        .size:           8
        .value_kind:     global_buffer
      - .offset:         48
        .size:           8
        .value_kind:     by_value
      - .offset:         56
        .size:           4
        .value_kind:     by_value
      - .offset:         64
        .size:           8
        .value_kind:     by_value
      - .offset:         72
        .size:           4
        .value_kind:     by_value
    .group_segment_fixed_size: 4096
    .kernarg_segment_align: 8
    .kernarg_segment_size: 76
    .language:       OpenCL C
    .language_version:
      - 2
      - 0
    .max_flat_workgroup_size: 256
    .name:           _ZL19rocblas_swap_kernelIiLi256EPKP19rocblas_complex_numIdEEviT1_lT_lS5_lS6_li
    .private_segment_fixed_size: 0
    .sgpr_count:     18
    .sgpr_spill_count: 0
    .symbol:         _ZL19rocblas_swap_kernelIiLi256EPKP19rocblas_complex_numIdEEviT1_lT_lS5_lS6_li.kd
    .uniform_work_group_size: 1
    .uses_dynamic_stack: false
    .vgpr_count:     15
    .vgpr_spill_count: 0
    .wavefront_size: 32
    .workgroup_processor_mode: 1
  - .args:
      - .offset:         0
        .size:           4
        .value_kind:     by_value
      - .actual_access:  read_only
        .address_space:  global
        .offset:         8
        .size:           8
        .value_kind:     global_buffer
      - .offset:         16
        .size:           8
        .value_kind:     by_value
      - .offset:         24
        .size:           8
        .value_kind:     by_value
      - .actual_access:  read_only
        .address_space:  global
        .offset:         32
        .size:           8
        .value_kind:     global_buffer
      - .offset:         40
        .size:           8
        .value_kind:     by_value
      - .offset:         48
        .size:           8
        .value_kind:     by_value
      - .offset:         56
        .size:           4
        .value_kind:     by_value
    .group_segment_fixed_size: 8192
    .kernarg_segment_align: 8
    .kernarg_segment_size: 60
    .language:       OpenCL C
    .language_version:
      - 2
      - 0
    .max_flat_workgroup_size: 256
    .name:           _ZL22rocblas_sswap_2_kernelILi256EPKP19rocblas_complex_numIdEEviT0_llS5_lli
    .private_segment_fixed_size: 0
    .sgpr_count:     18
    .sgpr_spill_count: 0
    .symbol:         _ZL22rocblas_sswap_2_kernelILi256EPKP19rocblas_complex_numIdEEviT0_llS5_lli.kd
    .uniform_work_group_size: 1
    .uses_dynamic_stack: false
    .vgpr_count:     18
    .vgpr_spill_count: 0
    .wavefront_size: 32
    .workgroup_processor_mode: 1
amdhsa.target:   amdgcn-amd-amdhsa--gfx1100
amdhsa.version:
  - 1
  - 2
...

	.end_amdgpu_metadata
